;; amdgpu-corpus repo=ROCm/rocFFT kind=compiled arch=gfx950 opt=O3
	.text
	.amdgcn_target "amdgcn-amd-amdhsa--gfx950"
	.amdhsa_code_object_version 6
	.protected	fft_rtc_back_len182_factors_13_2_7_wgs_52_tpt_13_sp_ip_CI_sbrr_dirReg ; -- Begin function fft_rtc_back_len182_factors_13_2_7_wgs_52_tpt_13_sp_ip_CI_sbrr_dirReg
	.globl	fft_rtc_back_len182_factors_13_2_7_wgs_52_tpt_13_sp_ip_CI_sbrr_dirReg
	.p2align	8
	.type	fft_rtc_back_len182_factors_13_2_7_wgs_52_tpt_13_sp_ip_CI_sbrr_dirReg,@function
fft_rtc_back_len182_factors_13_2_7_wgs_52_tpt_13_sp_ip_CI_sbrr_dirReg: ; @fft_rtc_back_len182_factors_13_2_7_wgs_52_tpt_13_sp_ip_CI_sbrr_dirReg
; %bb.0:
	s_load_dwordx2 s[12:13], s[0:1], 0x18
	s_load_dwordx4 s[4:7], s[0:1], 0x0
	s_load_dwordx2 s[10:11], s[0:1], 0x50
	v_mul_u32_u24_e32 v1, 0x13b2, v0
	v_lshrrev_b32_e32 v31, 16, v1
	s_waitcnt lgkmcnt(0)
	s_load_dwordx2 s[8:9], s[12:13], 0x0
	v_lshl_add_u32 v6, s2, 2, v31
	v_mov_b32_e32 v4, 0
	v_cmp_lt_u64_e64 s[2:3], s[6:7], 2
	v_mov_b32_e32 v7, v4
	s_and_b64 vcc, exec, s[2:3]
	v_mov_b64_e32 v[2:3], 0
	s_cbranch_vccnz .LBB0_8
; %bb.1:
	s_load_dwordx2 s[2:3], s[0:1], 0x10
	s_add_u32 s14, s12, 8
	s_addc_u32 s15, s13, 0
	s_mov_b64 s[16:17], 1
	v_mov_b64_e32 v[2:3], 0
	s_waitcnt lgkmcnt(0)
	s_add_u32 s18, s2, 8
	s_addc_u32 s19, s3, 0
.LBB0_2:                                ; =>This Inner Loop Header: Depth=1
	s_load_dwordx2 s[20:21], s[18:19], 0x0
                                        ; implicit-def: $vgpr8_vgpr9
	s_waitcnt lgkmcnt(0)
	v_or_b32_e32 v5, s21, v7
	v_cmp_ne_u64_e32 vcc, 0, v[4:5]
	s_and_saveexec_b64 s[2:3], vcc
	s_xor_b64 s[22:23], exec, s[2:3]
	s_cbranch_execz .LBB0_4
; %bb.3:                                ;   in Loop: Header=BB0_2 Depth=1
	v_cvt_f32_u32_e32 v1, s20
	v_cvt_f32_u32_e32 v5, s21
	s_sub_u32 s2, 0, s20
	s_subb_u32 s3, 0, s21
	v_fmac_f32_e32 v1, 0x4f800000, v5
	v_rcp_f32_e32 v1, v1
	s_nop 0
	v_mul_f32_e32 v1, 0x5f7ffffc, v1
	v_mul_f32_e32 v5, 0x2f800000, v1
	v_trunc_f32_e32 v5, v5
	v_fmac_f32_e32 v1, 0xcf800000, v5
	v_cvt_u32_f32_e32 v5, v5
	v_cvt_u32_f32_e32 v1, v1
	v_mul_lo_u32 v8, s2, v5
	v_mul_hi_u32 v10, s2, v1
	v_mul_lo_u32 v9, s3, v1
	v_add_u32_e32 v10, v10, v8
	v_mul_lo_u32 v12, s2, v1
	v_add_u32_e32 v13, v10, v9
	v_mul_hi_u32 v8, v1, v12
	v_mul_hi_u32 v11, v1, v13
	v_mul_lo_u32 v10, v1, v13
	v_mov_b32_e32 v9, v4
	v_lshl_add_u64 v[8:9], v[8:9], 0, v[10:11]
	v_mul_hi_u32 v11, v5, v12
	v_mul_lo_u32 v12, v5, v12
	v_add_co_u32_e32 v8, vcc, v8, v12
	v_mul_hi_u32 v10, v5, v13
	s_nop 0
	v_addc_co_u32_e32 v8, vcc, v9, v11, vcc
	v_mov_b32_e32 v9, v4
	s_nop 0
	v_addc_co_u32_e32 v11, vcc, 0, v10, vcc
	v_mul_lo_u32 v10, v5, v13
	v_lshl_add_u64 v[8:9], v[8:9], 0, v[10:11]
	v_add_co_u32_e32 v1, vcc, v1, v8
	v_mul_lo_u32 v10, s2, v1
	s_nop 0
	v_addc_co_u32_e32 v5, vcc, v5, v9, vcc
	v_mul_lo_u32 v8, s2, v5
	v_mul_hi_u32 v9, s2, v1
	v_add_u32_e32 v8, v9, v8
	v_mul_lo_u32 v9, s3, v1
	v_add_u32_e32 v12, v8, v9
	v_mul_hi_u32 v14, v5, v10
	v_mul_lo_u32 v15, v5, v10
	v_mul_hi_u32 v9, v1, v12
	v_mul_lo_u32 v8, v1, v12
	v_mul_hi_u32 v10, v1, v10
	v_mov_b32_e32 v11, v4
	v_lshl_add_u64 v[8:9], v[10:11], 0, v[8:9]
	v_add_co_u32_e32 v8, vcc, v8, v15
	v_mul_hi_u32 v13, v5, v12
	s_nop 0
	v_addc_co_u32_e32 v8, vcc, v9, v14, vcc
	v_mul_lo_u32 v10, v5, v12
	s_nop 0
	v_addc_co_u32_e32 v11, vcc, 0, v13, vcc
	v_mov_b32_e32 v9, v4
	v_lshl_add_u64 v[8:9], v[8:9], 0, v[10:11]
	v_add_co_u32_e32 v1, vcc, v1, v8
	v_mul_hi_u32 v10, v6, v1
	s_nop 0
	v_addc_co_u32_e32 v5, vcc, v5, v9, vcc
	v_mad_u64_u32 v[8:9], s[2:3], v6, v5, 0
	v_mov_b32_e32 v11, v4
	v_lshl_add_u64 v[8:9], v[10:11], 0, v[8:9]
	v_mad_u64_u32 v[12:13], s[2:3], v7, v1, 0
	v_add_co_u32_e32 v1, vcc, v8, v12
	v_mad_u64_u32 v[10:11], s[2:3], v7, v5, 0
	s_nop 0
	v_addc_co_u32_e32 v8, vcc, v9, v13, vcc
	v_mov_b32_e32 v9, v4
	s_nop 0
	v_addc_co_u32_e32 v11, vcc, 0, v11, vcc
	v_lshl_add_u64 v[8:9], v[8:9], 0, v[10:11]
	v_mul_lo_u32 v1, s21, v8
	v_mul_lo_u32 v5, s20, v9
	v_mad_u64_u32 v[10:11], s[2:3], s20, v8, 0
	v_add3_u32 v1, v11, v5, v1
	v_sub_u32_e32 v5, v7, v1
	v_mov_b32_e32 v11, s21
	v_sub_co_u32_e32 v14, vcc, v6, v10
	v_lshl_add_u64 v[12:13], v[8:9], 0, 1
	s_nop 0
	v_subb_co_u32_e64 v5, s[2:3], v5, v11, vcc
	v_subrev_co_u32_e64 v10, s[2:3], s20, v14
	v_subb_co_u32_e32 v1, vcc, v7, v1, vcc
	s_nop 0
	v_subbrev_co_u32_e64 v5, s[2:3], 0, v5, s[2:3]
	v_cmp_le_u32_e64 s[2:3], s21, v5
	v_cmp_le_u32_e32 vcc, s21, v1
	s_nop 0
	v_cndmask_b32_e64 v11, 0, -1, s[2:3]
	v_cmp_le_u32_e64 s[2:3], s20, v10
	s_nop 1
	v_cndmask_b32_e64 v10, 0, -1, s[2:3]
	v_cmp_eq_u32_e64 s[2:3], s21, v5
	s_nop 1
	v_cndmask_b32_e64 v5, v11, v10, s[2:3]
	v_lshl_add_u64 v[10:11], v[8:9], 0, 2
	v_cmp_ne_u32_e64 s[2:3], 0, v5
	s_nop 1
	v_cndmask_b32_e64 v5, v13, v11, s[2:3]
	v_cndmask_b32_e64 v11, 0, -1, vcc
	v_cmp_le_u32_e32 vcc, s20, v14
	s_nop 1
	v_cndmask_b32_e64 v13, 0, -1, vcc
	v_cmp_eq_u32_e32 vcc, s21, v1
	s_nop 1
	v_cndmask_b32_e32 v1, v11, v13, vcc
	v_cmp_ne_u32_e32 vcc, 0, v1
	v_cndmask_b32_e64 v1, v12, v10, s[2:3]
	s_nop 0
	v_cndmask_b32_e32 v9, v9, v5, vcc
	v_cndmask_b32_e32 v8, v8, v1, vcc
.LBB0_4:                                ;   in Loop: Header=BB0_2 Depth=1
	s_andn2_saveexec_b64 s[2:3], s[22:23]
	s_cbranch_execz .LBB0_6
; %bb.5:                                ;   in Loop: Header=BB0_2 Depth=1
	v_cvt_f32_u32_e32 v1, s20
	s_sub_i32 s22, 0, s20
	v_rcp_iflag_f32_e32 v1, v1
	s_nop 0
	v_mul_f32_e32 v1, 0x4f7ffffe, v1
	v_cvt_u32_f32_e32 v1, v1
	v_mul_lo_u32 v5, s22, v1
	v_mul_hi_u32 v5, v1, v5
	v_add_u32_e32 v1, v1, v5
	v_mul_hi_u32 v1, v6, v1
	v_mul_lo_u32 v5, v1, s20
	v_sub_u32_e32 v5, v6, v5
	v_add_u32_e32 v8, 1, v1
	v_subrev_u32_e32 v9, s20, v5
	v_cmp_le_u32_e32 vcc, s20, v5
	s_nop 1
	v_cndmask_b32_e32 v5, v5, v9, vcc
	v_cndmask_b32_e32 v1, v1, v8, vcc
	v_add_u32_e32 v8, 1, v1
	v_cmp_le_u32_e32 vcc, s20, v5
	v_mov_b32_e32 v9, v4
	s_nop 0
	v_cndmask_b32_e32 v8, v1, v8, vcc
.LBB0_6:                                ;   in Loop: Header=BB0_2 Depth=1
	s_or_b64 exec, exec, s[2:3]
	v_mad_u64_u32 v[10:11], s[2:3], v8, s20, 0
	s_load_dwordx2 s[2:3], s[14:15], 0x0
	v_mul_lo_u32 v1, v9, s20
	v_mul_lo_u32 v5, v8, s21
	v_add3_u32 v1, v11, v5, v1
	v_sub_co_u32_e32 v5, vcc, v6, v10
	s_add_u32 s16, s16, 1
	s_nop 0
	v_subb_co_u32_e32 v1, vcc, v7, v1, vcc
	s_addc_u32 s17, s17, 0
	s_waitcnt lgkmcnt(0)
	v_mul_lo_u32 v1, s2, v1
	v_mul_lo_u32 v6, s3, v5
	v_mad_u64_u32 v[2:3], s[2:3], s2, v5, v[2:3]
	s_add_u32 s14, s14, 8
	v_add3_u32 v3, v6, v3, v1
	s_addc_u32 s15, s15, 0
	v_mov_b64_e32 v[6:7], s[6:7]
	s_add_u32 s18, s18, 8
	v_cmp_ge_u64_e32 vcc, s[16:17], v[6:7]
	s_addc_u32 s19, s19, 0
	s_cbranch_vccnz .LBB0_9
; %bb.7:                                ;   in Loop: Header=BB0_2 Depth=1
	v_mov_b64_e32 v[6:7], v[8:9]
	s_branch .LBB0_2
.LBB0_8:
	v_mov_b64_e32 v[8:9], v[6:7]
.LBB0_9:
	s_lshl_b64 s[2:3], s[6:7], 3
	s_add_u32 s2, s12, s2
	s_addc_u32 s3, s13, s3
	s_load_dwordx2 s[6:7], s[2:3], 0x0
	s_load_dwordx2 s[12:13], s[0:1], 0x20
                                        ; implicit-def: $vgpr10
                                        ; implicit-def: $vgpr12
                                        ; implicit-def: $vgpr14
                                        ; implicit-def: $vgpr16
                                        ; implicit-def: $vgpr18
                                        ; implicit-def: $vgpr20
                                        ; implicit-def: $vgpr22
                                        ; implicit-def: $vgpr24
                                        ; implicit-def: $vgpr26
                                        ; implicit-def: $vgpr6
                                        ; implicit-def: $vgpr48
                                        ; implicit-def: $vgpr50
                                        ; implicit-def: $vgpr52
                                        ; implicit-def: $vgpr54
                                        ; implicit-def: $vgpr56
                                        ; implicit-def: $vgpr58
                                        ; implicit-def: $vgpr60
                                        ; implicit-def: $vgpr62
                                        ; implicit-def: $vgpr64
                                        ; implicit-def: $vgpr32
                                        ; implicit-def: $vgpr44
                                        ; implicit-def: $vgpr46
	s_waitcnt lgkmcnt(0)
	v_mad_u64_u32 v[2:3], s[0:1], s6, v8, v[2:3]
	v_mul_lo_u32 v1, s6, v9
	v_mul_lo_u32 v4, s7, v8
	s_mov_b32 s0, 0x13b13b14
	v_add3_u32 v3, v4, v3, v1
	v_mul_hi_u32 v1, v0, s0
	v_mul_u32_u24_e32 v1, 13, v1
	v_cmp_gt_u64_e32 vcc, s[12:13], v[8:9]
	v_sub_u32_e32 v30, v0, v1
	v_mov_b32_e32 v0, 0
	v_lshl_add_u64 v[28:29], v[2:3], 3, s[10:11]
	v_mov_b32_e32 v1, 0
                                        ; implicit-def: $vgpr4
                                        ; implicit-def: $vgpr8
                                        ; implicit-def: $vgpr2
	s_and_saveexec_b64 s[2:3], vcc
	s_cbranch_execz .LBB0_13
; %bb.10:
	v_mad_u64_u32 v[0:1], s[0:1], s8, v30, 0
	v_mov_b32_e32 v2, v1
	v_mad_u64_u32 v[2:3], s[0:1], s9, v30, v[2:3]
	v_add_u32_e32 v5, 14, v30
	v_mov_b32_e32 v1, v2
	v_mad_u64_u32 v[2:3], s[0:1], s8, v5, 0
	v_mov_b32_e32 v4, v3
	v_mad_u64_u32 v[4:5], s[0:1], s9, v5, v[4:5]
	v_mov_b32_e32 v3, v4
	v_add_u32_e32 v7, 28, v30
	v_lshl_add_u64 v[4:5], v[2:3], 3, v[28:29]
	v_mad_u64_u32 v[2:3], s[0:1], s8, v7, 0
	v_mov_b32_e32 v6, v3
	v_mad_u64_u32 v[6:7], s[0:1], s9, v7, v[6:7]
	v_mov_b32_e32 v3, v6
	v_add_u32_e32 v9, 42, v30
	v_lshl_add_u64 v[6:7], v[2:3], 3, v[28:29]
	v_mad_u64_u32 v[2:3], s[0:1], s8, v9, 0
	v_mov_b32_e32 v8, v3
	v_mad_u64_u32 v[8:9], s[0:1], s9, v9, v[8:9]
	v_lshl_add_u64 v[0:1], v[0:1], 3, v[28:29]
	v_mov_b32_e32 v3, v8
	v_lshl_add_u64 v[8:9], v[2:3], 3, v[28:29]
	global_load_dwordx2 v[2:3], v[0:1], off
	global_load_dwordx2 v[32:33], v[4:5], off
	;; [unrolled: 1-line block ×4, first 2 shown]
	v_add_u32_e32 v5, 56, v30
	v_mad_u64_u32 v[0:1], s[0:1], s8, v5, 0
	v_mov_b32_e32 v4, v1
	v_mad_u64_u32 v[4:5], s[0:1], s9, v5, v[4:5]
	v_add_u32_e32 v7, 0x46, v30
	v_mov_b32_e32 v1, v4
	v_mad_u64_u32 v[4:5], s[0:1], s8, v7, 0
	v_mov_b32_e32 v6, v5
	v_mad_u64_u32 v[6:7], s[0:1], s9, v7, v[6:7]
	v_add_u32_e32 v9, 0x54, v30
	v_mov_b32_e32 v5, v6
	;; [unrolled: 5-line block ×3, first 2 shown]
	v_mad_u64_u32 v[8:9], s[0:1], s8, v11, 0
	v_mov_b32_e32 v10, v9
	v_mad_u64_u32 v[10:11], s[0:1], s9, v11, v[10:11]
	v_or_b32_e32 v13, 0x70, v30
	v_mov_b32_e32 v9, v10
	v_mad_u64_u32 v[10:11], s[0:1], s8, v13, 0
	v_mov_b32_e32 v12, v11
	v_mad_u64_u32 v[12:13], s[0:1], s9, v13, v[12:13]
	v_add_u32_e32 v15, 0x7e, v30
	v_mov_b32_e32 v11, v12
	v_mad_u64_u32 v[12:13], s[0:1], s8, v15, 0
	v_mov_b32_e32 v14, v13
	v_mad_u64_u32 v[14:15], s[0:1], s9, v15, v[14:15]
	v_add_u32_e32 v17, 0x8c, v30
	;; [unrolled: 5-line block ×4, first 2 shown]
	v_mov_b32_e32 v17, v18
	v_mad_u64_u32 v[18:19], s[0:1], s8, v21, 0
	v_mov_b32_e32 v20, v19
	v_mad_u64_u32 v[20:21], s[0:1], s9, v21, v[20:21]
	v_lshl_add_u64 v[0:1], v[0:1], 3, v[28:29]
	v_mov_b32_e32 v19, v20
	v_lshl_add_u64 v[4:5], v[4:5], 3, v[28:29]
	v_lshl_add_u64 v[6:7], v[6:7], 3, v[28:29]
	v_lshl_add_u64 v[8:9], v[8:9], 3, v[28:29]
	v_lshl_add_u64 v[10:11], v[10:11], 3, v[28:29]
	v_lshl_add_u64 v[12:13], v[12:13], 3, v[28:29]
	v_lshl_add_u64 v[14:15], v[14:15], 3, v[28:29]
	v_lshl_add_u64 v[16:17], v[16:17], 3, v[28:29]
	v_lshl_add_u64 v[18:19], v[18:19], 3, v[28:29]
	global_load_dwordx2 v[50:51], v[0:1], off
	global_load_dwordx2 v[52:53], v[4:5], off
	;; [unrolled: 1-line block ×9, first 2 shown]
	v_cmp_eq_u32_e64 s[0:1], 0, v30
	v_mov_b32_e32 v1, 0
	v_mov_b32_e32 v0, 0
                                        ; implicit-def: $vgpr9
                                        ; implicit-def: $vgpr7
                                        ; implicit-def: $vgpr27
                                        ; implicit-def: $vgpr25
                                        ; implicit-def: $vgpr23
                                        ; implicit-def: $vgpr21
                                        ; implicit-def: $vgpr5
                                        ; implicit-def: $vgpr19
                                        ; implicit-def: $vgpr17
                                        ; implicit-def: $vgpr15
                                        ; implicit-def: $vgpr13
                                        ; implicit-def: $vgpr11
	s_and_saveexec_b64 s[6:7], s[0:1]
	s_cbranch_execz .LBB0_12
; %bb.11:
	v_mov_b32_e32 v0, 0x68
	v_mad_u64_u32 v[0:1], s[0:1], s8, v0, v[28:29]
	s_mul_i32 s0, s9, 0x68
	v_mov_b32_e32 v4, 0xd8
	v_add_u32_e32 v1, s0, v1
	v_mad_u64_u32 v[34:35], s[0:1], s8, v4, v[28:29]
	s_mul_i32 s0, s9, 0xd8
	v_mov_b32_e32 v4, 0x148
	v_add_u32_e32 v35, s0, v35
	;; [unrolled: 4-line block ×12, first 2 shown]
	v_mad_u64_u32 v[78:79], s[0:1], s8, v4, v[28:29]
	s_mul_i32 s0, s9, 0x5a8
	global_load_dwordx2 v[0:1], v[0:1], off
	v_add_u32_e32 v79, s0, v79
	global_load_dwordx2 v[8:9], v[34:35], off
	global_load_dwordx2 v[6:7], v[36:37], off
	;; [unrolled: 1-line block ×12, first 2 shown]
	v_mov_b32_e32 v30, 0
.LBB0_12:
	s_or_b64 exec, exec, s[6:7]
.LBB0_13:
	s_or_b64 exec, exec, s[2:3]
	s_waitcnt vmcnt(11)
	v_pk_add_f32 v[66:67], v[2:3], v[32:33]
	s_waitcnt vmcnt(1)
	v_pk_add_f32 v[40:41], v[44:45], v[64:65]
	v_pk_add_f32 v[70:71], v[44:45], v[64:65] neg_lo:[0,1] neg_hi:[0,1]
	v_pk_add_f32 v[44:45], v[66:67], v[44:45]
	s_waitcnt vmcnt(0)
	v_pk_add_f32 v[42:43], v[48:49], v[32:33]
	v_pk_add_f32 v[44:45], v[44:45], v[46:47]
	v_pk_add_f32 v[68:69], v[32:33], v[48:49] neg_lo:[0,1] neg_hi:[0,1]
	v_pk_add_f32 v[44:45], v[44:45], v[50:51]
	s_mov_b32 s48, 0xbeedf032
	v_pk_add_f32 v[44:45], v[44:45], v[52:53]
	v_mov_b32_e32 v92, v69
	v_pk_add_f32 v[44:45], v[44:45], v[54:55]
	v_mov_b32_e32 v93, v43
	v_pk_add_f32 v[44:45], v[44:45], v[56:57]
	s_mov_b32 s49, 0x3f62ad3f
	v_pk_add_f32 v[44:45], v[44:45], v[58:59]
	v_mov_b32_e32 v43, v68
	v_pk_add_f32 v[44:45], v[44:45], v[60:61]
	s_mov_b32 s2, s49
	v_pk_add_f32 v[44:45], v[44:45], v[62:63]
	s_mov_b32 s3, s48
	v_pk_add_f32 v[44:45], v[44:45], v[64:65]
	v_pk_add_f32 v[38:39], v[62:63], v[46:47]
	;; [unrolled: 1-line block ×3, first 2 shown]
	v_pk_mul_f32 v[44:45], v[92:93], s[48:49]
	v_pk_add_f32 v[72:73], v[46:47], v[62:63] neg_lo:[0,1] neg_hi:[0,1]
	v_pk_fma_f32 v[46:47], v[42:43], s[2:3], v[44:45]
	v_pk_fma_f32 v[48:49], v[42:43], s[2:3], v[44:45] neg_lo:[1,0,0] neg_hi:[1,0,0]
	s_mov_b32 s28, 0xbf52af12
	v_mov_b32_e32 v48, v46
	v_mov_b32_e32 v94, v71
	;; [unrolled: 1-line block ×3, first 2 shown]
	s_mov_b32 s29, 0x3f116cb1
	v_pk_add_f32 v[34:35], v[52:53], v[58:59]
	v_pk_add_f32 v[76:77], v[52:53], v[58:59] neg_lo:[0,1] neg_hi:[0,1]
	v_pk_add_f32 v[52:53], v[48:49], v[2:3]
	v_pk_mul_f32 v[48:49], v[94:95], s[28:29]
	v_mov_b32_e32 v41, v70
	s_mov_b32 s6, s29
	s_mov_b32 s7, s28
	v_pk_add_f32 v[36:37], v[50:51], v[60:61]
	v_pk_add_f32 v[74:75], v[50:51], v[60:61] neg_lo:[0,1] neg_hi:[0,1]
	v_pk_add_f32 v[32:33], v[54:55], v[56:57]
	v_pk_add_f32 v[78:79], v[54:55], v[56:57] neg_lo:[0,1] neg_hi:[0,1]
	v_pk_fma_f32 v[50:51], v[40:41], s[6:7], v[48:49]
	v_pk_fma_f32 v[54:55], v[40:41], s[6:7], v[48:49] neg_lo:[1,0,0] neg_hi:[1,0,0]
	s_mov_b32 s36, 0xbf7e222b
	v_mov_b32_e32 v54, v50
	v_mov_b32_e32 v96, v73
	v_mov_b32_e32 v97, v39
	s_mov_b32 s37, 0x3df6dbef
	v_pk_add_f32 v[56:57], v[54:55], v[52:53]
	v_pk_mul_f32 v[52:53], v[96:97], s[36:37]
	v_mov_b32_e32 v39, v72
	s_mov_b32 s10, s37
	s_mov_b32 s11, s36
	v_pk_fma_f32 v[54:55], v[38:39], s[10:11], v[52:53]
	v_pk_fma_f32 v[58:59], v[38:39], s[10:11], v[52:53] neg_lo:[1,0,0] neg_hi:[1,0,0]
	s_mov_b32 s24, 0xbf6f5d39
	v_mov_b32_e32 v58, v54
	v_mov_b32_e32 v98, v75
	v_mov_b32_e32 v99, v37
	s_mov_b32 s25, 0xbeb58ec6
	v_pk_add_f32 v[60:61], v[56:57], v[58:59]
	v_pk_mul_f32 v[56:57], v[98:99], s[24:25]
	v_mov_b32_e32 v37, v74
	s_mov_b32 s12, s25
	s_mov_b32 s13, s24
	;; [unrolled: 12-line block ×3, first 2 shown]
	v_pk_fma_f32 v[62:63], v[34:35], s[14:15], v[60:61]
	v_pk_fma_f32 v[66:67], v[34:35], s[14:15], v[60:61] neg_lo:[1,0,0] neg_hi:[1,0,0]
	s_mov_b32 s34, 0xbe750f2a
	v_mov_b32_e32 v66, v62
	v_mov_b32_e32 v126, v79
	;; [unrolled: 1-line block ×3, first 2 shown]
	s_mov_b32 s35, 0xbf788fa5
	v_and_b32_e32 v31, 3, v31
	v_pk_add_f32 v[68:69], v[66:67], v[64:65]
	v_pk_mul_f32 v[64:65], v[126:127], s[34:35]
	v_mov_b32_e32 v33, v78
	s_mov_b32 s16, s35
	s_mov_b32 s17, s34
	v_mul_u32_u24_e32 v31, 0xb6, v31
	v_pk_fma_f32 v[66:67], v[32:33], s[16:17], v[64:65]
	v_pk_fma_f32 v[70:71], v[32:33], s[16:17], v[64:65] neg_lo:[1,0,0] neg_hi:[1,0,0]
	v_mul_u32_u24_e32 v82, 0x68, v30
	v_mov_b32_e32 v70, v66
	v_lshlrev_b32_e32 v124, 3, v31
	v_pk_add_f32 v[68:69], v[70:71], v[68:69]
	v_add3_u32 v46, 0, v82, v124
	v_pk_mul_f32 v[70:71], v[92:93], s[28:29]
	ds_write2_b64 v46, v[80:81], v[68:69] offset1:1
	v_pk_fma_f32 v[68:69], v[42:43], s[6:7], v[70:71]
	v_pk_fma_f32 v[72:73], v[42:43], s[6:7], v[70:71] neg_lo:[1,0,0] neg_hi:[1,0,0]
	v_pk_mul_f32 v[74:75], v[94:95], s[24:25]
	v_mov_b32_e32 v72, v68
	v_pk_add_f32 v[76:77], v[72:73], v[2:3]
	v_pk_fma_f32 v[72:73], v[40:41], s[12:13], v[74:75]
	v_pk_fma_f32 v[78:79], v[40:41], s[12:13], v[74:75] neg_lo:[1,0,0] neg_hi:[1,0,0]
	s_mov_b32 s46, 0x3f29c268
	v_mov_b32_e32 v78, v72
	v_pk_add_f32 v[80:81], v[78:79], v[76:77]
	v_pk_mul_f32 v[78:79], v[96:97], s[34:35]
	s_mov_b32 s47, s31
	v_pk_fma_f32 v[76:77], v[38:39], s[16:17], v[78:79]
	v_pk_fma_f32 v[82:83], v[38:39], s[16:17], v[78:79] neg_lo:[1,0,0] neg_hi:[1,0,0]
	s_mov_b32 s18, s31
	v_mov_b32_e32 v82, v76
	v_pk_add_f32 v[84:85], v[80:81], v[82:83]
	s_mov_b32 s19, s46
	v_pk_mul_f32 v[82:83], v[98:99], s[46:47]
	s_mov_b32 s38, 0x3f7e222b
	v_pk_fma_f32 v[80:81], v[36:37], s[18:19], v[82:83]
	v_pk_fma_f32 v[86:87], v[36:37], s[18:19], v[82:83] neg_lo:[1,0,0] neg_hi:[1,0,0]
	s_mov_b32 s39, s37
	v_mov_b32_e32 v86, v80
	v_pk_add_f32 v[88:89], v[86:87], v[84:85]
	s_mov_b32 s20, s37
	s_mov_b32 s21, s38
	v_pk_mul_f32 v[86:87], v[108:109], s[38:39]
	s_mov_b32 s44, 0x3eedf032
	v_pk_fma_f32 v[84:85], v[34:35], s[20:21], v[86:87]
	v_pk_fma_f32 v[90:91], v[34:35], s[20:21], v[86:87] neg_lo:[1,0,0] neg_hi:[1,0,0]
	s_mov_b32 s45, s49
	v_mov_b32_e32 v90, v84
	v_pk_add_f32 v[100:101], v[90:91], v[88:89]
	s_mov_b32 s22, s49
	s_mov_b32 s23, s44
	v_pk_mul_f32 v[90:91], v[126:127], s[44:45]
	v_pk_mul_f32 v[106:107], v[94:95], s[34:35]
	v_pk_fma_f32 v[88:89], v[32:33], s[22:23], v[90:91]
	v_pk_fma_f32 v[102:103], v[32:33], s[22:23], v[90:91] neg_lo:[1,0,0] neg_hi:[1,0,0]
	v_pk_fma_f32 v[112:113], v[40:41], s[16:17], v[106:107] neg_lo:[1,0,0] neg_hi:[1,0,0]
	v_mov_b32_e32 v102, v88
	v_pk_add_f32 v[128:129], v[102:103], v[100:101]
	v_pk_mul_f32 v[102:103], v[92:93], s[36:37]
	s_mov_b32 s54, 0x3f6f5d39
	v_pk_fma_f32 v[100:101], v[42:43], s[10:11], v[102:103]
	v_pk_fma_f32 v[104:105], v[42:43], s[10:11], v[102:103] neg_lo:[1,0,0] neg_hi:[1,0,0]
	s_mov_b32 s55, s25
	v_mov_b32_e32 v104, v100
	v_pk_add_f32 v[110:111], v[104:105], v[2:3]
	v_pk_fma_f32 v[104:105], v[40:41], s[16:17], v[106:107]
	s_mov_b32 s26, s25
	v_mov_b32_e32 v112, v104
	v_pk_add_f32 v[114:115], v[112:113], v[110:111]
	s_mov_b32 s27, s54
	v_pk_mul_f32 v[112:113], v[96:97], s[54:55]
	v_pk_mul_f32 v[132:133], v[126:127], s[30:31]
	v_pk_fma_f32 v[110:111], v[38:39], s[26:27], v[112:113]
	v_pk_fma_f32 v[116:117], v[38:39], s[26:27], v[112:113] neg_lo:[1,0,0] neg_hi:[1,0,0]
	v_pk_fma_f32 v[134:135], v[32:33], s[14:15], v[132:133] neg_lo:[1,0,0] neg_hi:[1,0,0]
	v_mov_b32_e32 v116, v110
	v_pk_add_f32 v[118:119], v[114:115], v[116:117]
	v_pk_mul_f32 v[116:117], v[98:99], s[44:45]
	v_pk_mul_f32 v[136:137], v[94:95], s[46:47]
	v_pk_fma_f32 v[114:115], v[36:37], s[22:23], v[116:117]
	v_pk_fma_f32 v[120:121], v[36:37], s[22:23], v[116:117] neg_lo:[1,0,0] neg_hi:[1,0,0]
	v_pk_fma_f32 v[138:139], v[40:41], s[18:19], v[136:137]
	v_mov_b32_e32 v120, v114
	v_pk_add_f32 v[122:123], v[120:121], v[118:119]
	v_pk_mul_f32 v[120:121], v[108:109], s[28:29]
	v_pk_fma_f32 v[140:141], v[40:41], s[18:19], v[136:137] neg_lo:[1,0,0] neg_hi:[1,0,0]
	v_pk_fma_f32 v[118:119], v[34:35], s[6:7], v[120:121]
	v_pk_fma_f32 v[130:131], v[34:35], s[6:7], v[120:121] neg_lo:[1,0,0] neg_hi:[1,0,0]
	v_mov_b32_e32 v140, v138
	v_mov_b32_e32 v130, v118
	v_pk_add_f32 v[130:131], v[130:131], v[122:123]
	v_pk_fma_f32 v[122:123], v[32:33], s[14:15], v[132:133]
	s_mov_b32 s52, 0x3e750f2a
	v_mov_b32_e32 v134, v122
	v_pk_add_f32 v[130:131], v[134:135], v[130:131]
	ds_write2_b64 v46, v[128:129], v[130:131] offset0:2 offset1:3
	v_pk_mul_f32 v[128:129], v[92:93], s[24:25]
	s_mov_b32 s53, s35
	v_pk_fma_f32 v[130:131], v[42:43], s[12:13], v[128:129]
	v_pk_fma_f32 v[134:135], v[42:43], s[12:13], v[128:129] neg_lo:[1,0,0] neg_hi:[1,0,0]
	s_mov_b32 s40, s35
	v_mov_b32_e32 v134, v130
	v_pk_add_f32 v[134:135], v[134:135], v[2:3]
	s_mov_b32 s41, s52
	v_pk_add_f32 v[134:135], v[140:141], v[134:135]
	v_pk_mul_f32 v[140:141], v[96:97], s[44:45]
	s_mov_b32 s50, 0x3f52af12
	v_pk_fma_f32 v[142:143], v[38:39], s[22:23], v[140:141]
	v_pk_fma_f32 v[144:145], v[38:39], s[22:23], v[140:141] neg_lo:[1,0,0] neg_hi:[1,0,0]
	s_mov_b32 s51, s29
	v_mov_b32_e32 v144, v142
	v_pk_add_f32 v[134:135], v[134:135], v[144:145]
	v_pk_mul_f32 v[144:145], v[98:99], s[36:37]
	s_mov_b32 s42, s29
	v_pk_fma_f32 v[146:147], v[36:37], s[10:11], v[144:145]
	v_pk_fma_f32 v[148:149], v[36:37], s[10:11], v[144:145] neg_lo:[1,0,0] neg_hi:[1,0,0]
	s_mov_b32 s43, s50
	v_mov_b32_e32 v148, v146
	v_pk_add_f32 v[134:135], v[148:149], v[134:135]
	v_pk_mul_f32 v[148:149], v[108:109], s[52:53]
	v_pk_mul_f32 v[162:163], v[94:95], s[38:39]
	v_pk_fma_f32 v[150:151], v[34:35], s[40:41], v[148:149]
	v_pk_fma_f32 v[152:153], v[34:35], s[40:41], v[148:149] neg_lo:[1,0,0] neg_hi:[1,0,0]
	v_pk_fma_f32 v[164:165], v[40:41], s[20:21], v[162:163]
	v_mov_b32_e32 v152, v150
	v_pk_add_f32 v[134:135], v[152:153], v[134:135]
	v_pk_mul_f32 v[152:153], v[126:127], s[50:51]
	v_pk_fma_f32 v[166:167], v[40:41], s[20:21], v[162:163] neg_lo:[1,0,0] neg_hi:[1,0,0]
	v_pk_fma_f32 v[154:155], v[32:33], s[42:43], v[152:153]
	v_pk_fma_f32 v[156:157], v[32:33], s[42:43], v[152:153] neg_lo:[1,0,0] neg_hi:[1,0,0]
	v_mov_b32_e32 v166, v164
	v_mov_b32_e32 v156, v154
	v_pk_add_f32 v[134:135], v[156:157], v[134:135]
	v_pk_mul_f32 v[156:157], v[92:93], s[30:31]
	v_pk_mul_f32 v[92:93], v[92:93], s[34:35]
	v_pk_fma_f32 v[158:159], v[42:43], s[14:15], v[156:157]
	v_pk_fma_f32 v[160:161], v[42:43], s[14:15], v[156:157] neg_lo:[1,0,0] neg_hi:[1,0,0]
	v_pk_mul_f32 v[94:95], v[94:95], s[44:45]
	v_mov_b32_e32 v160, v158
	v_pk_add_f32 v[160:161], v[160:161], v[2:3]
	v_pk_fma_f32 v[184:185], v[40:41], s[22:23], v[94:95] neg_lo:[1,0,0] neg_hi:[1,0,0]
	v_pk_add_f32 v[160:161], v[166:167], v[160:161]
	v_pk_mul_f32 v[166:167], v[96:97], s[28:29]
	v_pk_mul_f32 v[96:97], v[96:97], s[30:31]
	v_pk_fma_f32 v[168:169], v[38:39], s[6:7], v[166:167]
	v_pk_fma_f32 v[170:171], v[38:39], s[6:7], v[166:167] neg_lo:[1,0,0] neg_hi:[1,0,0]
	v_pk_fma_f32 v[186:187], v[38:39], s[14:15], v[96:97] neg_lo:[1,0,0] neg_hi:[1,0,0]
	v_mov_b32_e32 v170, v168
	v_pk_add_f32 v[160:161], v[160:161], v[170:171]
	v_pk_mul_f32 v[170:171], v[98:99], s[52:53]
	v_pk_mul_f32 v[98:99], v[98:99], s[50:51]
	v_pk_fma_f32 v[172:173], v[36:37], s[40:41], v[170:171]
	v_pk_fma_f32 v[174:175], v[36:37], s[40:41], v[170:171] neg_lo:[1,0,0] neg_hi:[1,0,0]
	v_pk_fma_f32 v[188:189], v[36:37], s[42:43], v[98:99] neg_lo:[1,0,0] neg_hi:[1,0,0]
	v_mov_b32_e32 v174, v172
	;; [unrolled: 7-line block ×4, first 2 shown]
	v_pk_add_f32 v[160:161], v[182:183], v[160:161]
	ds_write2_b64 v46, v[134:135], v[160:161] offset0:4 offset1:5
	v_pk_fma_f32 v[134:135], v[42:43], s[16:17], v[92:93]
	v_pk_fma_f32 v[160:161], v[42:43], s[16:17], v[92:93] neg_lo:[1,0,0] neg_hi:[1,0,0]
	v_pk_fma_f32 v[92:93], v[42:43], s[16:17], v[92:93] neg_lo:[0,0,1] neg_hi:[0,0,1]
	v_mov_b32_e32 v160, v134
	v_pk_fma_f32 v[182:183], v[40:41], s[22:23], v[94:95]
	v_mov_b32_e32 v93, v135
	v_pk_fma_f32 v[94:95], v[40:41], s[22:23], v[94:95] neg_lo:[0,0,1] neg_hi:[0,0,1]
	v_pk_add_f32 v[160:161], v[160:161], v[2:3]
	v_mov_b32_e32 v184, v182
	v_mov_b32_e32 v95, v183
	v_pk_add_f32 v[92:93], v[92:93], v[2:3]
	v_pk_add_f32 v[160:161], v[184:185], v[160:161]
	v_pk_fma_f32 v[184:185], v[38:39], s[14:15], v[96:97]
	v_pk_add_f32 v[92:93], v[94:95], v[92:93]
	v_pk_fma_f32 v[94:95], v[38:39], s[14:15], v[96:97] neg_lo:[0,0,1] neg_hi:[0,0,1]
	v_mov_b32_e32 v186, v184
	v_mov_b32_e32 v95, v185
	v_pk_add_f32 v[160:161], v[160:161], v[186:187]
	v_pk_fma_f32 v[186:187], v[36:37], s[42:43], v[98:99]
	v_pk_add_f32 v[92:93], v[92:93], v[94:95]
	v_pk_fma_f32 v[94:95], v[36:37], s[42:43], v[98:99] neg_lo:[0,0,1] neg_hi:[0,0,1]
	v_mov_b32_e32 v188, v186
	v_mov_b32_e32 v95, v187
	v_pk_add_f32 v[160:161], v[188:189], v[160:161]
	v_pk_fma_f32 v[188:189], v[34:35], s[12:13], v[108:109]
	v_pk_add_f32 v[92:93], v[94:95], v[92:93]
	v_pk_fma_f32 v[94:95], v[34:35], s[12:13], v[108:109] neg_lo:[0,0,1] neg_hi:[0,0,1]
	v_mov_b32_e32 v190, v188
	v_mov_b32_e32 v95, v189
	v_pk_add_f32 v[160:161], v[190:191], v[160:161]
	v_pk_fma_f32 v[190:191], v[32:33], s[20:21], v[126:127]
	v_pk_add_f32 v[92:93], v[94:95], v[92:93]
	v_pk_fma_f32 v[94:95], v[32:33], s[20:21], v[126:127] neg_lo:[0,0,1] neg_hi:[0,0,1]
	v_mov_b32_e32 v192, v190
	v_mov_b32_e32 v95, v191
	v_pk_add_f32 v[160:161], v[192:193], v[160:161]
	v_pk_add_f32 v[92:93], v[94:95], v[92:93]
	ds_write2_b64 v46, v[160:161], v[92:93] offset0:6 offset1:7
	v_pk_fma_f32 v[92:93], v[42:43], s[14:15], v[156:157] neg_lo:[0,0,1] neg_hi:[0,0,1]
	v_pk_fma_f32 v[94:95], v[40:41], s[20:21], v[162:163] neg_lo:[0,0,1] neg_hi:[0,0,1]
	v_mov_b32_e32 v93, v159
	v_mov_b32_e32 v95, v165
	v_pk_add_f32 v[92:93], v[92:93], v[2:3]
	v_pk_fma_f32 v[96:97], v[40:41], s[18:19], v[136:137] neg_lo:[0,0,1] neg_hi:[0,0,1]
	v_pk_add_f32 v[92:93], v[94:95], v[92:93]
	v_pk_fma_f32 v[94:95], v[38:39], s[6:7], v[166:167] neg_lo:[0,0,1] neg_hi:[0,0,1]
	v_mov_b32_e32 v97, v139
	v_mov_b32_e32 v95, v169
	v_pk_add_f32 v[92:93], v[92:93], v[94:95]
	v_pk_fma_f32 v[94:95], v[36:37], s[40:41], v[170:171] neg_lo:[0,0,1] neg_hi:[0,0,1]
	v_pk_fma_f32 v[70:71], v[42:43], s[6:7], v[70:71] neg_lo:[0,0,1] neg_hi:[0,0,1]
	v_mov_b32_e32 v95, v173
	v_pk_add_f32 v[92:93], v[94:95], v[92:93]
	v_pk_fma_f32 v[94:95], v[34:35], s[22:23], v[174:175] neg_lo:[0,0,1] neg_hi:[0,0,1]
	v_mov_b32_e32 v71, v69
	v_mov_b32_e32 v95, v177
	v_pk_add_f32 v[92:93], v[94:95], v[92:93]
	v_pk_fma_f32 v[94:95], v[32:33], s[12:13], v[178:179] neg_lo:[0,0,1] neg_hi:[0,0,1]
	v_pk_fma_f32 v[68:69], v[40:41], s[12:13], v[74:75] neg_lo:[0,0,1] neg_hi:[0,0,1]
	v_mov_b32_e32 v95, v181
	v_pk_add_f32 v[92:93], v[94:95], v[92:93]
	v_pk_fma_f32 v[94:95], v[42:43], s[12:13], v[128:129] neg_lo:[0,0,1] neg_hi:[0,0,1]
	v_mov_b32_e32 v69, v73
	v_mov_b32_e32 v95, v131
	v_pk_add_f32 v[94:95], v[94:95], v[2:3]
	v_pk_add_f32 v[70:71], v[70:71], v[2:3]
	;; [unrolled: 1-line block ×3, first 2 shown]
	v_pk_fma_f32 v[96:97], v[38:39], s[22:23], v[140:141] neg_lo:[0,0,1] neg_hi:[0,0,1]
	v_pk_add_f32 v[68:69], v[68:69], v[70:71]
	v_mov_b32_e32 v97, v143
	v_pk_add_f32 v[94:95], v[94:95], v[96:97]
	v_pk_fma_f32 v[96:97], v[36:37], s[10:11], v[144:145] neg_lo:[0,0,1] neg_hi:[0,0,1]
	v_pk_fma_f32 v[70:71], v[38:39], s[16:17], v[78:79] neg_lo:[0,0,1] neg_hi:[0,0,1]
	v_mov_b32_e32 v97, v147
	v_pk_add_f32 v[94:95], v[96:97], v[94:95]
	v_pk_fma_f32 v[96:97], v[34:35], s[40:41], v[148:149] neg_lo:[0,0,1] neg_hi:[0,0,1]
	v_mov_b32_e32 v71, v77
	v_mov_b32_e32 v97, v151
	v_pk_add_f32 v[94:95], v[96:97], v[94:95]
	v_pk_fma_f32 v[96:97], v[32:33], s[42:43], v[152:153] neg_lo:[0,0,1] neg_hi:[0,0,1]
	v_pk_add_f32 v[68:69], v[68:69], v[70:71]
	v_mov_b32_e32 v97, v155
	v_pk_add_f32 v[94:95], v[96:97], v[94:95]
	ds_write2_b64 v46, v[92:93], v[94:95] offset0:8 offset1:9
	v_pk_fma_f32 v[92:93], v[42:43], s[10:11], v[102:103] neg_lo:[0,0,1] neg_hi:[0,0,1]
	v_pk_fma_f32 v[94:95], v[40:41], s[16:17], v[106:107] neg_lo:[0,0,1] neg_hi:[0,0,1]
	v_mov_b32_e32 v93, v101
	v_mov_b32_e32 v95, v105
	v_pk_add_f32 v[92:93], v[92:93], v[2:3]
	v_pk_fma_f32 v[42:43], v[42:43], s[2:3], v[44:45] neg_lo:[0,0,1] neg_hi:[0,0,1]
	v_pk_add_f32 v[92:93], v[94:95], v[92:93]
	v_pk_fma_f32 v[94:95], v[38:39], s[26:27], v[112:113] neg_lo:[0,0,1] neg_hi:[0,0,1]
	v_pk_fma_f32 v[70:71], v[36:37], s[18:19], v[82:83] neg_lo:[0,0,1] neg_hi:[0,0,1]
	v_mov_b32_e32 v95, v111
	v_pk_add_f32 v[92:93], v[92:93], v[94:95]
	v_pk_fma_f32 v[94:95], v[36:37], s[22:23], v[116:117] neg_lo:[0,0,1] neg_hi:[0,0,1]
	v_mov_b32_e32 v43, v47
	v_pk_fma_f32 v[40:41], v[40:41], s[6:7], v[48:49] neg_lo:[0,0,1] neg_hi:[0,0,1]
	v_mov_b32_e32 v95, v115
	v_mov_b32_e32 v71, v81
	v_pk_add_f32 v[2:3], v[42:43], v[2:3]
	v_mov_b32_e32 v41, v51
	v_pk_fma_f32 v[38:39], v[38:39], s[10:11], v[52:53] neg_lo:[0,0,1] neg_hi:[0,0,1]
	v_pk_add_f32 v[92:93], v[94:95], v[92:93]
	v_pk_fma_f32 v[94:95], v[34:35], s[6:7], v[120:121] neg_lo:[0,0,1] neg_hi:[0,0,1]
	v_pk_add_f32 v[68:69], v[70:71], v[68:69]
	;; [unrolled: 2-line block ×3, first 2 shown]
	v_mov_b32_e32 v39, v55
	v_pk_fma_f32 v[36:37], v[36:37], s[12:13], v[56:57] neg_lo:[0,0,1] neg_hi:[0,0,1]
	v_mov_b32_e32 v95, v119
	v_mov_b32_e32 v71, v85
	v_pk_add_f32 v[2:3], v[2:3], v[38:39]
	v_mov_b32_e32 v37, v59
	v_pk_fma_f32 v[34:35], v[34:35], s[14:15], v[60:61] neg_lo:[0,0,1] neg_hi:[0,0,1]
	v_pk_add_f32 v[92:93], v[94:95], v[92:93]
	v_pk_fma_f32 v[94:95], v[32:33], s[14:15], v[132:133] neg_lo:[0,0,1] neg_hi:[0,0,1]
	v_pk_add_f32 v[68:69], v[70:71], v[68:69]
	;; [unrolled: 2-line block ×3, first 2 shown]
	v_mov_b32_e32 v35, v63
	v_pk_fma_f32 v[32:33], v[32:33], s[16:17], v[64:65] neg_lo:[0,0,1] neg_hi:[0,0,1]
	v_mov_b32_e32 v95, v123
	v_mov_b32_e32 v71, v89
	v_pk_add_f32 v[2:3], v[34:35], v[2:3]
	v_mov_b32_e32 v33, v67
	v_pk_add_f32 v[92:93], v[94:95], v[92:93]
	v_pk_add_f32 v[68:69], v[70:71], v[68:69]
	;; [unrolled: 1-line block ×3, first 2 shown]
	v_cmp_eq_u32_e64 s[0:1], 0, v30
	ds_write2_b64 v46, v[92:93], v[68:69] offset0:10 offset1:11
	ds_write_b64 v46, v[2:3] offset:96
	s_and_saveexec_b64 s[56:57], s[0:1]
	s_cbranch_execz .LBB0_15
; %bb.14:
	v_pk_add_f32 v[2:3], v[0:1], v[8:9]
	v_pk_add_f32 v[76:77], v[8:9], v[10:11]
	v_pk_add_f32 v[2:3], v[2:3], v[6:7]
	v_pk_add_f32 v[32:33], v[8:9], v[10:11] neg_lo:[0,1] neg_hi:[0,1]
	v_pk_add_f32 v[2:3], v[2:3], v[4:5]
	v_pk_add_f32 v[74:75], v[6:7], v[12:13]
	v_pk_add_f32 v[2:3], v[2:3], v[20:21]
	v_pk_add_f32 v[34:35], v[6:7], v[12:13] neg_lo:[0,1] neg_hi:[0,1]
	;; [unrolled: 4-line block ×5, first 2 shown]
	v_pk_add_f32 v[2:3], v[12:13], v[2:3]
	v_pk_add_f32 v[66:67], v[24:25], v[26:27]
	;; [unrolled: 1-line block ×3, first 2 shown]
	v_mov_b32_e32 v2, v76
	v_mov_b32_e32 v76, v33
	;; [unrolled: 1-line block ×3, first 2 shown]
	v_pk_mul_f32 v[6:7], v[76:77], s[48:49]
	v_pk_add_f32 v[42:43], v[24:25], v[26:27] neg_lo:[0,1] neg_hi:[0,1]
	v_pk_fma_f32 v[4:5], v[2:3], s[2:3], v[6:7]
	v_pk_fma_f32 v[8:9], v[2:3], s[2:3], v[6:7] neg_lo:[1,0,0] neg_hi:[1,0,0]
	v_lshl_add_u32 v31, v31, 3, 0
	v_mov_b32_e32 v8, v4
	v_pk_add_f32 v[14:15], v[0:1], v[8:9]
	v_mov_b32_e32 v8, v74
	v_mov_b32_e32 v74, v35
	;; [unrolled: 1-line block ×3, first 2 shown]
	v_pk_mul_f32 v[12:13], v[74:75], s[28:29]
	v_pk_mul_f32 v[48:49], v[74:75], s[24:25]
	v_pk_fma_f32 v[10:11], v[8:9], s[6:7], v[12:13]
	v_pk_fma_f32 v[16:17], v[8:9], s[6:7], v[12:13] neg_lo:[1,0,0] neg_hi:[1,0,0]
	v_pk_fma_f32 v[52:53], v[8:9], s[12:13], v[48:49] neg_lo:[1,0,0] neg_hi:[1,0,0]
	v_mov_b32_e32 v16, v10
	v_pk_add_f32 v[20:21], v[14:15], v[16:17]
	v_mov_b32_e32 v14, v72
	v_mov_b32_e32 v72, v37
	;; [unrolled: 1-line block ×3, first 2 shown]
	v_pk_mul_f32 v[18:19], v[72:73], s[36:37]
	v_pk_mul_f32 v[86:87], v[74:75], s[34:35]
	v_pk_fma_f32 v[16:17], v[14:15], s[10:11], v[18:19]
	v_pk_fma_f32 v[22:23], v[14:15], s[10:11], v[18:19] neg_lo:[1,0,0] neg_hi:[1,0,0]
	v_pk_fma_f32 v[88:89], v[8:9], s[16:17], v[86:87]
	v_mov_b32_e32 v22, v16
	v_pk_add_f32 v[26:27], v[20:21], v[22:23]
	v_mov_b32_e32 v20, v70
	v_mov_b32_e32 v70, v39
	;; [unrolled: 1-line block ×3, first 2 shown]
	v_pk_mul_f32 v[24:25], v[70:71], s[24:25]
	v_pk_fma_f32 v[90:91], v[8:9], s[16:17], v[86:87] neg_lo:[1,0,0] neg_hi:[1,0,0]
	v_pk_fma_f32 v[22:23], v[20:21], s[12:13], v[24:25]
	v_pk_fma_f32 v[32:33], v[20:21], s[12:13], v[24:25] neg_lo:[1,0,0] neg_hi:[1,0,0]
	v_mov_b32_e32 v90, v88
	v_mov_b32_e32 v32, v22
	v_pk_add_f32 v[36:37], v[26:27], v[32:33]
	v_mov_b32_e32 v26, v68
	v_mov_b32_e32 v68, v41
	;; [unrolled: 1-line block ×3, first 2 shown]
	v_pk_mul_f32 v[34:35], v[68:69], s[30:31]
	v_pk_mul_f32 v[108:109], v[74:75], s[46:47]
	v_pk_fma_f32 v[32:33], v[26:27], s[14:15], v[34:35]
	v_pk_fma_f32 v[38:39], v[26:27], s[14:15], v[34:35] neg_lo:[1,0,0] neg_hi:[1,0,0]
	v_pk_fma_f32 v[110:111], v[8:9], s[18:19], v[108:109]
	v_mov_b32_e32 v38, v32
	v_pk_add_f32 v[46:47], v[36:37], v[38:39]
	v_mov_b32_e32 v36, v66
	v_mov_b32_e32 v66, v43
	v_mov_b32_e32 v37, v42
	v_pk_mul_f32 v[40:41], v[66:67], s[34:35]
	v_pk_fma_f32 v[112:113], v[8:9], s[18:19], v[108:109] neg_lo:[1,0,0] neg_hi:[1,0,0]
	v_pk_fma_f32 v[38:39], v[36:37], s[16:17], v[40:41]
	v_pk_fma_f32 v[42:43], v[36:37], s[16:17], v[40:41] neg_lo:[1,0,0] neg_hi:[1,0,0]
	v_mov_b32_e32 v112, v110
	v_mov_b32_e32 v42, v38
	v_pk_add_f32 v[42:43], v[46:47], v[42:43]
	ds_write2_b64 v31, v[44:45], v[42:43] offset0:169 offset1:170
	v_pk_mul_f32 v[44:45], v[76:77], s[28:29]
	v_pk_mul_f32 v[136:137], v[74:75], s[38:39]
	v_pk_fma_f32 v[42:43], v[2:3], s[6:7], v[44:45]
	v_pk_fma_f32 v[46:47], v[2:3], s[6:7], v[44:45] neg_lo:[1,0,0] neg_hi:[1,0,0]
	v_pk_fma_f32 v[138:139], v[8:9], s[20:21], v[136:137]
	v_mov_b32_e32 v46, v42
	v_pk_add_f32 v[50:51], v[0:1], v[46:47]
	v_pk_fma_f32 v[46:47], v[8:9], s[12:13], v[48:49]
	v_pk_fma_f32 v[140:141], v[8:9], s[20:21], v[136:137] neg_lo:[1,0,0] neg_hi:[1,0,0]
	v_mov_b32_e32 v52, v46
	v_pk_add_f32 v[54:55], v[50:51], v[52:53]
	v_pk_mul_f32 v[52:53], v[72:73], s[34:35]
	v_mov_b32_e32 v140, v138
	v_pk_fma_f32 v[50:51], v[14:15], s[16:17], v[52:53]
	v_pk_fma_f32 v[56:57], v[14:15], s[16:17], v[52:53] neg_lo:[1,0,0] neg_hi:[1,0,0]
	v_pk_mul_f32 v[74:75], v[74:75], s[44:45]
	v_mov_b32_e32 v56, v50
	v_pk_add_f32 v[58:59], v[54:55], v[56:57]
	v_pk_mul_f32 v[56:57], v[70:71], s[46:47]
	v_pk_fma_f32 v[158:159], v[8:9], s[22:23], v[74:75] neg_lo:[1,0,0] neg_hi:[1,0,0]
	v_pk_fma_f32 v[54:55], v[20:21], s[18:19], v[56:57]
	v_pk_fma_f32 v[60:61], v[20:21], s[18:19], v[56:57] neg_lo:[1,0,0] neg_hi:[1,0,0]
	v_pk_fma_f32 v[44:45], v[2:3], s[6:7], v[44:45] neg_lo:[0,0,1] neg_hi:[0,0,1]
	v_mov_b32_e32 v60, v54
	v_pk_add_f32 v[62:63], v[58:59], v[60:61]
	v_pk_mul_f32 v[60:61], v[68:69], s[38:39]
	v_mov_b32_e32 v45, v43
	v_pk_fma_f32 v[58:59], v[26:27], s[20:21], v[60:61]
	v_pk_fma_f32 v[64:65], v[26:27], s[20:21], v[60:61] neg_lo:[1,0,0] neg_hi:[1,0,0]
	v_pk_add_f32 v[42:43], v[0:1], v[44:45]
	v_mov_b32_e32 v64, v58
	v_pk_add_f32 v[78:79], v[62:63], v[64:65]
	v_pk_mul_f32 v[64:65], v[66:67], s[44:45]
	v_pk_fma_f32 v[44:45], v[8:9], s[12:13], v[48:49] neg_lo:[0,0,1] neg_hi:[0,0,1]
	v_pk_fma_f32 v[62:63], v[36:37], s[22:23], v[64:65]
	v_pk_fma_f32 v[80:81], v[36:37], s[22:23], v[64:65] neg_lo:[1,0,0] neg_hi:[1,0,0]
	v_mov_b32_e32 v45, v47
	v_mov_b32_e32 v80, v62
	v_pk_add_f32 v[78:79], v[78:79], v[80:81]
	v_pk_mul_f32 v[80:81], v[76:77], s[36:37]
	v_pk_add_f32 v[42:43], v[42:43], v[44:45]
	v_pk_fma_f32 v[82:83], v[2:3], s[10:11], v[80:81]
	v_pk_fma_f32 v[84:85], v[2:3], s[10:11], v[80:81] neg_lo:[1,0,0] neg_hi:[1,0,0]
	v_pk_fma_f32 v[44:45], v[14:15], s[16:17], v[52:53] neg_lo:[0,0,1] neg_hi:[0,0,1]
	v_mov_b32_e32 v84, v82
	v_pk_add_f32 v[84:85], v[0:1], v[84:85]
	v_mov_b32_e32 v45, v51
	v_pk_add_f32 v[84:85], v[84:85], v[90:91]
	v_pk_mul_f32 v[90:91], v[72:73], s[54:55]
	v_pk_add_f32 v[42:43], v[42:43], v[44:45]
	v_pk_fma_f32 v[92:93], v[14:15], s[26:27], v[90:91]
	v_pk_fma_f32 v[94:95], v[14:15], s[26:27], v[90:91] neg_lo:[1,0,0] neg_hi:[1,0,0]
	v_pk_fma_f32 v[44:45], v[20:21], s[18:19], v[56:57] neg_lo:[0,0,1] neg_hi:[0,0,1]
	v_mov_b32_e32 v94, v92
	v_pk_add_f32 v[84:85], v[84:85], v[94:95]
	v_pk_mul_f32 v[94:95], v[70:71], s[44:45]
	v_mov_b32_e32 v45, v55
	v_pk_fma_f32 v[96:97], v[20:21], s[22:23], v[94:95]
	v_pk_fma_f32 v[98:99], v[20:21], s[22:23], v[94:95] neg_lo:[1,0,0] neg_hi:[1,0,0]
	v_pk_add_f32 v[42:43], v[42:43], v[44:45]
	v_mov_b32_e32 v98, v96
	v_pk_add_f32 v[84:85], v[84:85], v[98:99]
	v_pk_mul_f32 v[98:99], v[68:69], s[28:29]
	v_pk_fma_f32 v[44:45], v[26:27], s[20:21], v[60:61] neg_lo:[0,0,1] neg_hi:[0,0,1]
	v_pk_fma_f32 v[100:101], v[26:27], s[6:7], v[98:99]
	v_pk_fma_f32 v[102:103], v[26:27], s[6:7], v[98:99] neg_lo:[1,0,0] neg_hi:[1,0,0]
	v_mov_b32_e32 v45, v59
	v_mov_b32_e32 v102, v100
	v_pk_add_f32 v[84:85], v[84:85], v[102:103]
	v_pk_mul_f32 v[102:103], v[66:67], s[30:31]
	v_pk_add_f32 v[42:43], v[42:43], v[44:45]
	v_pk_fma_f32 v[104:105], v[36:37], s[14:15], v[102:103]
	v_pk_fma_f32 v[106:107], v[36:37], s[14:15], v[102:103] neg_lo:[1,0,0] neg_hi:[1,0,0]
	v_pk_fma_f32 v[44:45], v[36:37], s[22:23], v[64:65] neg_lo:[0,0,1] neg_hi:[0,0,1]
	v_mov_b32_e32 v106, v104
	v_pk_add_f32 v[84:85], v[84:85], v[106:107]
	ds_write2_b64 v31, v[78:79], v[84:85] offset0:171 offset1:172
	v_pk_mul_f32 v[78:79], v[76:77], s[24:25]
	v_mov_b32_e32 v45, v63
	v_pk_fma_f32 v[84:85], v[2:3], s[12:13], v[78:79]
	v_pk_fma_f32 v[106:107], v[2:3], s[12:13], v[78:79] neg_lo:[1,0,0] neg_hi:[1,0,0]
	v_pk_add_f32 v[42:43], v[42:43], v[44:45]
	v_mov_b32_e32 v106, v84
	v_pk_add_f32 v[106:107], v[0:1], v[106:107]
	s_nop 0
	v_pk_add_f32 v[106:107], v[106:107], v[112:113]
	v_pk_mul_f32 v[112:113], v[72:73], s[44:45]
	s_nop 0
	v_pk_fma_f32 v[114:115], v[14:15], s[22:23], v[112:113]
	v_pk_fma_f32 v[116:117], v[14:15], s[22:23], v[112:113] neg_lo:[1,0,0] neg_hi:[1,0,0]
	s_nop 0
	v_mov_b32_e32 v116, v114
	v_pk_add_f32 v[106:107], v[106:107], v[116:117]
	v_pk_mul_f32 v[116:117], v[70:71], s[36:37]
	s_nop 0
	v_pk_fma_f32 v[118:119], v[20:21], s[10:11], v[116:117]
	v_pk_fma_f32 v[120:121], v[20:21], s[10:11], v[116:117] neg_lo:[1,0,0] neg_hi:[1,0,0]
	s_nop 0
	v_mov_b32_e32 v120, v118
	;; [unrolled: 7-line block ×4, first 2 shown]
	v_pk_add_f32 v[106:107], v[106:107], v[130:131]
	v_pk_mul_f32 v[130:131], v[76:77], s[30:31]
	v_pk_mul_f32 v[76:77], v[76:77], s[34:35]
	v_pk_fma_f32 v[132:133], v[2:3], s[14:15], v[130:131]
	v_pk_fma_f32 v[134:135], v[2:3], s[14:15], v[130:131] neg_lo:[1,0,0] neg_hi:[1,0,0]
	s_nop 0
	v_mov_b32_e32 v134, v132
	v_pk_add_f32 v[134:135], v[0:1], v[134:135]
	s_nop 0
	v_pk_add_f32 v[134:135], v[134:135], v[140:141]
	v_pk_mul_f32 v[140:141], v[72:73], s[28:29]
	v_pk_mul_f32 v[72:73], v[72:73], s[30:31]
	v_pk_fma_f32 v[142:143], v[14:15], s[6:7], v[140:141]
	v_pk_fma_f32 v[144:145], v[14:15], s[6:7], v[140:141] neg_lo:[1,0,0] neg_hi:[1,0,0]
	v_pk_fma_f32 v[160:161], v[14:15], s[14:15], v[72:73] neg_lo:[1,0,0] neg_hi:[1,0,0]
	v_mov_b32_e32 v144, v142
	v_pk_add_f32 v[134:135], v[134:135], v[144:145]
	v_pk_mul_f32 v[144:145], v[70:71], s[52:53]
	v_pk_mul_f32 v[70:71], v[70:71], s[50:51]
	v_pk_fma_f32 v[146:147], v[20:21], s[40:41], v[144:145]
	v_pk_fma_f32 v[148:149], v[20:21], s[40:41], v[144:145] neg_lo:[1,0,0] neg_hi:[1,0,0]
	v_pk_fma_f32 v[162:163], v[20:21], s[42:43], v[70:71] neg_lo:[1,0,0] neg_hi:[1,0,0]
	v_mov_b32_e32 v148, v146
	;; [unrolled: 7-line block ×4, first 2 shown]
	v_pk_add_f32 v[134:135], v[134:135], v[156:157]
	ds_write2_b64 v31, v[106:107], v[134:135] offset0:173 offset1:174
	v_pk_fma_f32 v[106:107], v[2:3], s[16:17], v[76:77]
	v_pk_fma_f32 v[134:135], v[2:3], s[16:17], v[76:77] neg_lo:[1,0,0] neg_hi:[1,0,0]
	v_pk_fma_f32 v[156:157], v[8:9], s[22:23], v[74:75]
	v_mov_b32_e32 v134, v106
	v_pk_add_f32 v[134:135], v[0:1], v[134:135]
	v_mov_b32_e32 v158, v156
	v_pk_add_f32 v[134:135], v[134:135], v[158:159]
	v_pk_fma_f32 v[158:159], v[14:15], s[14:15], v[72:73]
	v_pk_fma_f32 v[76:77], v[2:3], s[16:17], v[76:77] neg_lo:[0,0,1] neg_hi:[0,0,1]
	v_mov_b32_e32 v160, v158
	v_pk_add_f32 v[134:135], v[134:135], v[160:161]
	v_pk_fma_f32 v[160:161], v[20:21], s[42:43], v[70:71]
	v_mov_b32_e32 v77, v107
	v_pk_fma_f32 v[74:75], v[8:9], s[22:23], v[74:75] neg_lo:[0,0,1] neg_hi:[0,0,1]
	v_mov_b32_e32 v162, v160
	v_pk_add_f32 v[76:77], v[0:1], v[76:77]
	v_mov_b32_e32 v75, v157
	v_pk_fma_f32 v[72:73], v[14:15], s[14:15], v[72:73] neg_lo:[0,0,1] neg_hi:[0,0,1]
	v_pk_add_f32 v[134:135], v[134:135], v[162:163]
	v_pk_fma_f32 v[162:163], v[26:27], s[12:13], v[68:69]
	v_pk_add_f32 v[74:75], v[76:77], v[74:75]
	v_mov_b32_e32 v73, v159
	v_pk_fma_f32 v[70:71], v[20:21], s[42:43], v[70:71] neg_lo:[0,0,1] neg_hi:[0,0,1]
	v_mov_b32_e32 v164, v162
	v_pk_add_f32 v[72:73], v[74:75], v[72:73]
	v_mov_b32_e32 v71, v161
	v_pk_fma_f32 v[68:69], v[26:27], s[12:13], v[68:69] neg_lo:[0,0,1] neg_hi:[0,0,1]
	v_pk_add_f32 v[134:135], v[134:135], v[164:165]
	v_pk_fma_f32 v[164:165], v[36:37], s[20:21], v[66:67]
	v_pk_add_f32 v[70:71], v[72:73], v[70:71]
	v_mov_b32_e32 v69, v163
	v_pk_fma_f32 v[66:67], v[36:37], s[20:21], v[66:67] neg_lo:[0,0,1] neg_hi:[0,0,1]
	v_mov_b32_e32 v166, v164
	v_pk_add_f32 v[68:69], v[70:71], v[68:69]
	v_mov_b32_e32 v67, v165
	v_pk_add_f32 v[134:135], v[134:135], v[166:167]
	v_pk_add_f32 v[66:67], v[68:69], v[66:67]
	ds_write2_b64 v31, v[134:135], v[66:67] offset0:175 offset1:176
	v_pk_fma_f32 v[66:67], v[2:3], s[14:15], v[130:131] neg_lo:[0,0,1] neg_hi:[0,0,1]
	v_pk_fma_f32 v[68:69], v[8:9], s[20:21], v[136:137] neg_lo:[0,0,1] neg_hi:[0,0,1]
	v_mov_b32_e32 v67, v133
	v_pk_add_f32 v[66:67], v[0:1], v[66:67]
	v_mov_b32_e32 v69, v139
	v_pk_add_f32 v[66:67], v[66:67], v[68:69]
	v_pk_fma_f32 v[68:69], v[14:15], s[6:7], v[140:141] neg_lo:[0,0,1] neg_hi:[0,0,1]
	v_pk_fma_f32 v[70:71], v[8:9], s[18:19], v[108:109] neg_lo:[0,0,1] neg_hi:[0,0,1]
	v_mov_b32_e32 v69, v143
	v_pk_add_f32 v[66:67], v[66:67], v[68:69]
	v_pk_fma_f32 v[68:69], v[20:21], s[40:41], v[144:145] neg_lo:[0,0,1] neg_hi:[0,0,1]
	v_mov_b32_e32 v71, v111
	v_mov_b32_e32 v69, v147
	v_pk_add_f32 v[66:67], v[66:67], v[68:69]
	v_pk_fma_f32 v[68:69], v[26:27], s[22:23], v[148:149] neg_lo:[0,0,1] neg_hi:[0,0,1]
	s_nop 0
	v_mov_b32_e32 v69, v151
	v_pk_add_f32 v[66:67], v[66:67], v[68:69]
	v_pk_fma_f32 v[68:69], v[36:37], s[12:13], v[152:153] neg_lo:[0,0,1] neg_hi:[0,0,1]
	s_nop 0
	;; [unrolled: 4-line block ×3, first 2 shown]
	v_mov_b32_e32 v69, v85
	v_pk_add_f32 v[68:69], v[0:1], v[68:69]
	s_nop 0
	v_pk_add_f32 v[68:69], v[68:69], v[70:71]
	v_pk_fma_f32 v[70:71], v[14:15], s[22:23], v[112:113] neg_lo:[0,0,1] neg_hi:[0,0,1]
	s_nop 0
	v_mov_b32_e32 v71, v115
	v_pk_add_f32 v[68:69], v[68:69], v[70:71]
	v_pk_fma_f32 v[70:71], v[20:21], s[10:11], v[116:117] neg_lo:[0,0,1] neg_hi:[0,0,1]
	s_nop 0
	v_mov_b32_e32 v71, v119
	;; [unrolled: 4-line block ×4, first 2 shown]
	v_pk_add_f32 v[68:69], v[68:69], v[70:71]
	ds_write2_b64 v31, v[66:67], v[68:69] offset0:177 offset1:178
	v_pk_fma_f32 v[66:67], v[2:3], s[10:11], v[80:81] neg_lo:[0,0,1] neg_hi:[0,0,1]
	v_pk_fma_f32 v[2:3], v[2:3], s[2:3], v[6:7] neg_lo:[0,0,1] neg_hi:[0,0,1]
	v_mov_b32_e32 v67, v83
	v_mov_b32_e32 v3, v5
	v_pk_add_f32 v[66:67], v[0:1], v[66:67]
	v_pk_fma_f32 v[68:69], v[8:9], s[16:17], v[86:87] neg_lo:[0,0,1] neg_hi:[0,0,1]
	v_pk_add_f32 v[0:1], v[0:1], v[2:3]
	v_pk_fma_f32 v[2:3], v[8:9], s[6:7], v[12:13] neg_lo:[0,0,1] neg_hi:[0,0,1]
	v_mov_b32_e32 v69, v89
	v_mov_b32_e32 v3, v11
	v_pk_add_f32 v[66:67], v[66:67], v[68:69]
	v_pk_fma_f32 v[68:69], v[14:15], s[26:27], v[90:91] neg_lo:[0,0,1] neg_hi:[0,0,1]
	v_pk_add_f32 v[0:1], v[0:1], v[2:3]
	;; [unrolled: 6-line block ×5, first 2 shown]
	v_pk_fma_f32 v[2:3], v[36:37], s[16:17], v[40:41] neg_lo:[0,0,1] neg_hi:[0,0,1]
	v_mov_b32_e32 v69, v105
	v_mov_b32_e32 v3, v39
	v_pk_add_f32 v[66:67], v[66:67], v[68:69]
	v_pk_add_f32 v[0:1], v[0:1], v[2:3]
	ds_write2_b64 v31, v[66:67], v[42:43] offset0:179 offset1:180
	ds_write_b64 v31, v[0:1] offset:1448
.LBB0_15:
	s_or_b64 exec, exec, s[56:57]
	v_add_u16_e32 v2, 26, v30
	s_movk_i32 s0, 0x4f
	v_mul_lo_u16_sdwa v3, v2, s0 dst_sel:DWORD dst_unused:UNUSED_PAD src0_sel:BYTE_0 src1_sel:DWORD
	v_lshrrev_b16_e32 v3, 10, v3
	v_mul_lo_u16_e32 v3, 13, v3
	v_sub_u16_e32 v2, v2, v3
	v_add_u16_e32 v3, 39, v30
	v_mul_lo_u16_sdwa v4, v3, s0 dst_sel:DWORD dst_unused:UNUSED_PAD src0_sel:BYTE_0 src1_sel:DWORD
	v_lshrrev_b16_e32 v4, 10, v4
	v_mul_lo_u16_e32 v4, 13, v4
	v_sub_u16_e32 v3, v3, v4
	v_add_u16_e32 v4, 52, v30
	v_mul_lo_u16_sdwa v5, v4, s0 dst_sel:DWORD dst_unused:UNUSED_PAD src0_sel:BYTE_0 src1_sel:DWORD
	v_lshrrev_b16_e32 v5, 10, v5
	v_mul_lo_u16_e32 v5, 13, v5
	v_sub_u16_e32 v4, v4, v5
	v_mov_b32_e32 v5, 3
	v_lshlrev_b32_sdwa v33, v5, v4 dst_sel:DWORD dst_unused:UNUSED_PAD src0_sel:DWORD src1_sel:BYTE_0
	v_add_u16_e32 v4, 0x41, v30
	v_mul_lo_u16_sdwa v6, v4, s0 dst_sel:DWORD dst_unused:UNUSED_PAD src0_sel:BYTE_0 src1_sel:DWORD
	v_lshrrev_b16_e32 v6, 10, v6
	v_mul_lo_u16_e32 v6, 13, v6
	v_sub_u16_e32 v4, v4, v6
	v_lshlrev_b32_sdwa v46, v5, v4 dst_sel:DWORD dst_unused:UNUSED_PAD src0_sel:DWORD src1_sel:BYTE_0
	v_add_u16_e32 v4, 0x4e, v30
	v_mul_lo_u16_sdwa v6, v4, s0 dst_sel:DWORD dst_unused:UNUSED_PAD src0_sel:BYTE_0 src1_sel:DWORD
	v_lshrrev_b16_e32 v6, 10, v6
	v_mul_lo_u16_e32 v6, 13, v6
	v_sub_u16_e32 v4, v4, v6
	s_waitcnt lgkmcnt(0)
	; wave barrier
	s_waitcnt lgkmcnt(0)
	v_mov_b32_e32 v31, 0
	v_lshlrev_b32_sdwa v47, v5, v4 dst_sel:DWORD dst_unused:UNUSED_PAD src0_sel:DWORD src1_sel:BYTE_0
	global_load_dwordx2 v[24:25], v33, s[4:5]
	global_load_dwordx2 v[26:27], v46, s[4:5]
	;; [unrolled: 1-line block ×3, first 2 shown]
	v_lshlrev_b32_sdwa v49, v5, v3 dst_sel:DWORD dst_unused:UNUSED_PAD src0_sel:DWORD src1_sel:BYTE_0
	v_lshl_add_u64 v[0:1], v[30:31], 3, s[4:5]
	v_lshlrev_b32_sdwa v48, v5, v2 dst_sel:DWORD dst_unused:UNUSED_PAD src0_sel:DWORD src1_sel:BYTE_0
	global_load_dwordx2 v[36:37], v49, s[4:5]
	global_load_dwordx2 v[38:39], v48, s[4:5]
	global_load_dwordx2 v[40:41], v[0:1], off
	v_lshlrev_b32_e32 v0, 3, v30
	v_add_u32_e32 v50, 0, v124
	v_add3_u32 v32, 0, v0, v124
	v_add_u32_e32 v31, v50, v0
	ds_read2_b64 v[0:3], v32 offset0:91 offset1:104
	ds_read2_b64 v[4:7], v32 offset0:117 offset1:130
	;; [unrolled: 1-line block ×6, first 2 shown]
	ds_read_b64 v[42:43], v32 offset:1352
	ds_read_b64 v[44:45], v31
	v_add_u32_e32 v60, v50, v48
	v_add_u32_e32 v61, v50, v49
	;; [unrolled: 1-line block ×5, first 2 shown]
	s_waitcnt lgkmcnt(0)
	; wave barrier
	s_waitcnt vmcnt(5) lgkmcnt(0)
	v_pk_mul_f32 v[50:51], v[12:13], v[24:25] op_sel:[0,1]
	s_waitcnt vmcnt(4)
	v_pk_mul_f32 v[48:49], v[14:15], v[26:27] op_sel:[0,1]
	s_waitcnt vmcnt(3)
	;; [unrolled: 2-line block ×5, first 2 shown]
	v_pk_mul_f32 v[56:57], v[40:41], v[0:1] op_sel:[0,1]
	v_pk_fma_f32 v[58:59], v[42:43], v[34:35], v[46:47] op_sel:[0,0,1] op_sel_hi:[1,1,0]
	v_pk_fma_f32 v[34:35], v[42:43], v[34:35], v[46:47] op_sel:[0,0,1] op_sel_hi:[1,0,0] neg_lo:[0,0,1] neg_hi:[0,0,1]
	v_pk_fma_f32 v[42:43], v[14:15], v[26:27], v[48:49] op_sel:[0,0,1] op_sel_hi:[1,1,0]
	v_pk_fma_f32 v[14:15], v[14:15], v[26:27], v[48:49] op_sel:[0,0,1] op_sel_hi:[1,0,0] neg_lo:[0,0,1] neg_hi:[0,0,1]
	;; [unrolled: 2-line block ×5, first 2 shown]
	v_pk_fma_f32 v[38:39], v[40:41], v[0:1], v[56:57] op_sel:[0,0,1] op_sel_hi:[1,1,0]
	v_mov_b32_e32 v59, v35
	v_mov_b32_e32 v25, v7
	v_mov_b32_e32 v37, v5
	v_pk_fma_f32 v[0:1], v[40:41], v[0:1], v[56:57] op_sel:[0,0,1] op_sel_hi:[1,0,0] neg_lo:[1,0,0] neg_hi:[1,0,0]
	v_pk_mul_f32 v[34:35], v[40:41], v[2:3] op_sel:[0,1]
	v_mov_b32_e32 v43, v15
	v_pk_add_f32 v[14:15], v[16:17], v[24:25] neg_lo:[0,1] neg_hi:[0,1]
	v_pk_add_f32 v[24:25], v[22:23], v[36:37] neg_lo:[0,1] neg_hi:[0,1]
	v_mov_b32_e32 v39, v1
	v_pk_fma_f32 v[36:37], v[40:41], v[2:3], v[34:35] op_sel:[0,0,1] op_sel_hi:[1,1,0]
	v_pk_fma_f32 v[2:3], v[40:41], v[2:3], v[34:35] op_sel:[0,0,1] op_sel_hi:[1,0,0] neg_lo:[1,0,0] neg_hi:[1,0,0]
	v_mov_b32_e32 v27, v13
	v_pk_add_f32 v[0:1], v[44:45], v[38:39] neg_lo:[0,1] neg_hi:[0,1]
	v_mov_b32_e32 v37, v3
	v_pk_add_f32 v[4:5], v[10:11], v[58:59] neg_lo:[0,1] neg_hi:[0,1]
	v_pk_add_f32 v[6:7], v[8:9], v[42:43] neg_lo:[0,1] neg_hi:[0,1]
	;; [unrolled: 1-line block ×3, first 2 shown]
	v_pk_fma_f32 v[26:27], v[44:45], 2.0, v[0:1] op_sel_hi:[1,0,1] neg_lo:[0,0,1] neg_hi:[0,0,1]
	v_pk_add_f32 v[2:3], v[20:21], v[36:37] neg_lo:[0,1] neg_hi:[0,1]
	v_pk_fma_f32 v[10:11], v[10:11], 2.0, v[4:5] op_sel_hi:[1,0,1] neg_lo:[0,0,1] neg_hi:[0,0,1]
	v_pk_fma_f32 v[8:9], v[8:9], 2.0, v[6:7] op_sel_hi:[1,0,1] neg_lo:[0,0,1] neg_hi:[0,0,1]
	;; [unrolled: 1-line block ×6, first 2 shown]
	ds_write2_b64 v32, v[26:27], v[0:1] offset1:13
	ds_write2_b64 v32, v[20:21], v[2:3] offset0:26 offset1:39
	ds_write2_b64 v60, v[22:23], v[24:25] offset0:52 offset1:65
	;; [unrolled: 1-line block ×6, first 2 shown]
	s_waitcnt lgkmcnt(0)
	; wave barrier
	s_waitcnt lgkmcnt(0)
	s_and_saveexec_b64 s[0:1], vcc
	s_cbranch_execz .LBB0_17
; %bb.16:
	v_add_u32_e32 v0, 13, v30
	v_mul_u32_u24_e32 v1, 6, v30
	v_mul_u32_u24_e32 v0, 6, v0
	v_lshlrev_b32_e32 v1, 3, v1
	v_lshlrev_b32_e32 v0, 3, v0
	global_load_dwordx4 v[46:49], v1, s[4:5] offset:136
	global_load_dwordx4 v[4:7], v0, s[4:5] offset:104
	;; [unrolled: 1-line block ×6, first 2 shown]
	s_mov_b32 s1, 0x4ec4ec4f
	ds_read2_b64 v[12:15], v32 offset0:39 offset1:52
	ds_read2_b64 v[16:19], v32 offset0:117 offset1:130
	;; [unrolled: 1-line block ×6, first 2 shown]
	ds_read_b64 v[32:33], v32 offset:1352
	ds_read_b64 v[66:67], v31
	v_mul_hi_u32 v31, v30, s1
	v_lshrrev_b32_e32 v31, 3, v31
	v_mul_lo_u32 v31, v31, 26
	v_sub_u32_e32 v31, v30, v31
	v_mad_u64_u32 v[34:35], s[2:3], s8, v31, 0
	v_add_u32_e32 v37, 26, v31
	v_add_u32_e32 v41, 52, v31
	;; [unrolled: 1-line block ×4, first 2 shown]
	v_mov_b32_e32 v38, v35
	v_mad_u64_u32 v[42:43], s[2:3], s8, v37, 0
	v_mad_u64_u32 v[44:45], s[2:3], s8, v41, 0
	;; [unrolled: 1-line block ×5, first 2 shown]
	v_mov_b32_e32 v74, v43
	v_mov_b32_e32 v76, v45
	;; [unrolled: 1-line block ×5, first 2 shown]
	v_mad_u64_u32 v[38:39], s[2:3], s9, v37, v[74:75]
	v_mad_u64_u32 v[74:75], s[2:3], s9, v41, v[76:77]
	;; [unrolled: 1-line block ×4, first 2 shown]
	v_mov_b32_e32 v71, v78
	v_add_u32_e32 v83, 0x82, v31
	v_mov_b32_e32 v43, v38
	v_mov_b32_e32 v45, v74
	v_mad_u64_u32 v[72:73], s[2:3], s8, v83, 0
	v_lshl_add_u64 v[80:81], v[34:35], 3, v[28:29]
	v_mov_b32_e32 v69, v76
	v_lshl_add_u64 v[74:75], v[42:43], 3, v[28:29]
	v_lshl_add_u64 v[76:77], v[44:45], 3, v[28:29]
	v_mov_b32_e32 v82, v73
	v_mad_u64_u32 v[82:83], s[2:3], s9, v83, v[82:83]
	v_add_u32_e32 v31, 0x9c, v31
	v_mov_b32_e32 v73, v82
	v_mad_u64_u32 v[82:83], s[2:3], s8, v31, 0
	s_mov_b32 s14, 0xbeae86e6
	s_mov_b32 s15, 0x3f08b237
	;; [unrolled: 1-line block ×8, first 2 shown]
	v_lshl_add_u64 v[68:69], v[68:69], 3, v[28:29]
	v_lshl_add_u64 v[70:71], v[70:71], 3, v[28:29]
	;; [unrolled: 1-line block ×3, first 2 shown]
	s_waitcnt lgkmcnt(4)
	v_mov_b32_e32 v40, v25
	v_mov_b32_e32 v41, v62
	s_waitcnt lgkmcnt(3)
	v_mov_b32_e32 v36, v21
	s_waitcnt vmcnt(5)
	v_pk_mul_f32 v[78:79], v[48:49], v[26:27]
	s_nop 0
	v_mov_b32_e32 v89, v78
	v_mov_b32_e32 v91, v79
	s_waitcnt vmcnt(2) lgkmcnt(2)
	v_mul_f32_e32 v88, v50, v2
	v_mul_f32_e32 v90, v51, v3
	v_pk_add_f32 v[78:79], v[88:89], v[90:91]
	v_mov_b32_e32 v90, v19
	v_mov_b32_e32 v91, v22
	;; [unrolled: 1-line block ×3, first 2 shown]
	s_waitcnt vmcnt(1)
	v_mov_b32_e32 v95, v55
	v_pk_mul_f32 v[34:35], v[4:5], v[12:13]
	s_waitcnt lgkmcnt(1)
	v_pk_mul_f32 v[38:39], v[10:11], v[32:33]
	v_pk_mul_f32 v[44:45], v[24:25], v[8:9] op_sel:[1,0] op_sel_hi:[0,1]
	v_pk_mul_f32 v[42:43], v[20:21], v[6:7] op_sel:[1,0] op_sel_hi:[0,1]
	v_mul_f32_e32 v37, v53, v14
	v_mov_b32_e32 v88, v18
	v_mov_b32_e32 v89, v23
	;; [unrolled: 1-line block ×4, first 2 shown]
	v_pk_mul_f32 v[90:91], v[94:95], v[90:91]
	v_mov_b32_e32 v84, v34
	v_mov_b32_e32 v85, v38
	;; [unrolled: 1-line block ×6, first 2 shown]
	v_fma_f32 v86, v52, v15, -v37
	v_pk_fma_f32 v[94:95], v[46:47], v[88:89], v[90:91]
	v_pk_fma_f32 v[88:89], v[92:93], v[88:89], v[90:91] neg_lo:[0,0,1] neg_hi:[0,0,1]
	v_mov_b32_e32 v92, v14
	v_mov_b32_e32 v96, v53
	;; [unrolled: 1-line block ×5, first 2 shown]
	v_pk_add_f32 v[42:43], v[84:85], v[38:39]
	v_pk_add_f32 v[38:39], v[34:35], v[44:45] neg_lo:[0,1] neg_hi:[0,1]
	v_mov_b32_e32 v90, v52
	v_mov_b32_e32 v91, v56
	;; [unrolled: 1-line block ×3, first 2 shown]
	v_pk_mul_f32 v[14:15], v[96:97], v[14:15]
	v_mov_b32_e32 v34, v39
	v_mov_b32_e32 v84, v43
	v_pk_fma_f32 v[52:53], v[52:53], v[92:93], v[14:15]
	v_pk_fma_f32 v[14:15], v[90:91], v[92:93], v[14:15] neg_lo:[0,0,1] neg_hi:[0,0,1]
	v_mov_b32_e32 v91, v48
	v_mov_b32_e32 v92, v22
	;; [unrolled: 1-line block ×5, first 2 shown]
	v_pk_add_f32 v[44:45], v[38:39], v[34:35]
	v_pk_add_f32 v[34:35], v[42:43], v[84:85]
	v_mov_b32_e32 v84, v83
	v_mov_b32_e32 v90, v54
	;; [unrolled: 1-line block ×3, first 2 shown]
	v_pk_mul_f32 v[22:23], v[48:49], v[22:23]
	v_mad_u64_u32 v[84:85], s[2:3], s9, v31, v[84:85]
	v_pk_fma_f32 v[26:27], v[90:91], v[92:93], v[22:23]
	v_pk_fma_f32 v[22:23], v[90:91], v[92:93], v[22:23] neg_lo:[0,0,1] neg_hi:[0,0,1]
	v_mov_b32_e32 v83, v84
	v_mov_b32_e32 v84, v65
	;; [unrolled: 1-line block ×8, first 2 shown]
	v_pk_mul_f32 v[48:49], v[50:51], v[84:85]
	v_mov_b32_e32 v95, v89
	v_pk_fma_f32 v[50:51], v[22:23], v[2:3], v[48:49]
	v_pk_fma_f32 v[2:3], v[22:23], v[2:3], v[48:49] neg_lo:[0,0,1] neg_hi:[0,0,1]
	v_mov_b32_e32 v53, v15
	v_mov_b32_e32 v51, v3
	v_mul_f32_e32 v2, v47, v18
	v_mov_b32_e32 v14, v79
	v_fma_f32 v2, v46, v19, -v2
	v_pk_add_f32 v[22:23], v[78:79], v[14:15]
	v_pk_add_f32 v[46:47], v[50:51], v[26:27]
	;; [unrolled: 1-line block ×3, first 2 shown]
	v_add_f32_e32 v19, v86, v2
	v_mov_b32_e32 v23, v49
	v_mov_b32_e32 v18, v46
	v_pk_add_f32 v[64:65], v[52:53], v[94:95] neg_lo:[0,1] neg_hi:[0,1]
	v_pk_add_f32 v[52:53], v[22:23], v[18:19] neg_lo:[0,1] neg_hi:[0,1]
	v_mov_b32_e32 v18, v48
	v_mov_b32_e32 v23, v47
	v_pk_add_f32 v[54:55], v[46:47], v[48:49] neg_lo:[0,1] neg_hi:[0,1]
	v_pk_add_f32 v[84:85], v[22:23], v[18:19]
	v_mov_b32_e32 v47, v49
	v_pk_add_f32 v[46:47], v[46:47], v[84:85]
	v_mov_b32_e32 v14, v15
	v_mov_b32_e32 v15, v78
	;; [unrolled: 1-line block ×5, first 2 shown]
	s_waitcnt lgkmcnt(0)
	v_pk_add_f32 v[48:49], v[46:47], v[66:67]
	v_pk_add_f32 v[66:67], v[50:51], v[26:27] neg_lo:[0,1] neg_hi:[0,1]
	v_pk_add_f32 v[14:15], v[14:15], v[78:79] neg_lo:[0,1] neg_hi:[0,1]
	;; [unrolled: 1-line block ×3, first 2 shown]
	s_mov_b32 s2, 0x3f4a47b2
	v_mov_b32_e32 v26, v67
	v_mov_b32_e32 v27, v3
	;; [unrolled: 1-line block ×4, first 2 shown]
	s_mov_b32 s3, 0x3d64c772
	v_pk_add_f32 v[26:27], v[26:27], v[50:51] neg_lo:[0,1] neg_hi:[0,1]
	v_pk_add_f32 v[50:51], v[14:15], v[2:3] neg_lo:[0,1] neg_hi:[0,1]
	v_mov_b32_e32 v84, v14
	v_mov_b32_e32 v85, v3
	;; [unrolled: 1-line block ×3, first 2 shown]
	v_pk_mul_f32 v[52:53], v[52:53], s[2:3]
	s_mov_b32 s4, s3
	s_mov_b32 s5, s2
	v_pk_mul_f32 v[26:27], v[26:27], s[14:15]
	v_pk_add_f32 v[64:65], v[84:85], v[2:3]
	v_mov_b32_e32 v14, v67
	v_pk_mul_f32 v[56:57], v[54:55], s[4:5]
	v_pk_fma_f32 v[54:55], v[54:55], s[4:5], v[52:53]
	v_pk_fma_f32 v[46:47], v[46:47], s[12:13], v[48:49] op_sel_hi:[1,0,1] neg_lo:[1,0,0] neg_hi:[1,0,0]
	v_pk_mul_f32 v[78:79], v[50:51], s[16:17]
	v_pk_fma_f32 v[50:51], v[50:51], s[16:17], v[26:27]
	v_pk_add_f32 v[64:65], v[14:15], v[64:65]
	v_pk_add_f32 v[54:55], v[54:55], v[46:47]
	v_pk_fma_f32 v[50:51], v[64:65], s[0:1], v[50:51] op_sel_hi:[1,0,1]
	global_store_dwordx2 v[80:81], v[48:49], off
	v_pk_add_f32 v[66:67], v[54:55], v[50:51] neg_lo:[0,1] neg_hi:[0,1]
	v_pk_add_f32 v[50:51], v[54:55], v[50:51]
	v_mov_b32_e32 v49, v67
	v_mov_b32_e32 v48, v50
	global_store_dwordx2 v[74:75], v[48:49], off
	v_mov_b32_e32 v48, v52
	v_mov_b32_e32 v49, v57
	v_pk_add_f32 v[18:19], v[18:19], v[22:23] neg_lo:[0,1] neg_hi:[0,1]
	v_pk_add_f32 v[2:3], v[2:3], v[14:15] neg_lo:[0,1] neg_hi:[0,1]
	v_mov_b32_e32 v14, v26
	v_mov_b32_e32 v15, v79
	v_pk_fma_f32 v[22:23], v[18:19], s[6:7], v[48:49] op_sel_hi:[1,0,1] neg_lo:[1,0,1] neg_hi:[1,0,1]
	v_pk_fma_f32 v[14:15], v[2:3], s[10:11], v[14:15] op_sel_hi:[1,0,1] neg_lo:[1,0,1] neg_hi:[1,0,1]
	v_pk_add_f32 v[22:23], v[22:23], v[46:47]
	v_pk_fma_f32 v[14:15], v[64:65], s[0:1], v[14:15] op_sel_hi:[1,0,1]
	v_mov_b32_e32 v57, v53
	v_mov_b32_e32 v79, v27
	v_pk_add_f32 v[48:49], v[22:23], v[14:15] neg_lo:[0,1] neg_hi:[0,1]
	v_pk_add_f32 v[14:15], v[22:23], v[14:15]
	v_pk_fma_f32 v[18:19], v[18:19], s[6:7], v[56:57] op_sel_hi:[1,0,1] neg_lo:[0,0,1] neg_hi:[0,0,1]
	v_pk_fma_f32 v[2:3], v[2:3], s[10:11], v[78:79] op_sel_hi:[1,0,1] neg_lo:[0,0,1] neg_hi:[0,0,1]
	v_mov_b32_e32 v22, v14
	v_mov_b32_e32 v23, v49
	v_pk_add_f32 v[18:19], v[18:19], v[46:47]
	v_pk_fma_f32 v[2:3], v[64:65], s[0:1], v[2:3] op_sel_hi:[1,0,1]
	global_store_dwordx2 v[76:77], v[22:23], off
	v_pk_add_f32 v[22:23], v[18:19], v[2:3]
	v_pk_add_f32 v[2:3], v[18:19], v[2:3] neg_lo:[0,1] neg_hi:[0,1]
	v_mov_b32_e32 v19, v23
	v_mov_b32_e32 v18, v2
	v_add_u32_e32 v2, 13, v30
	v_mov_b32_e32 v23, v3
	v_mul_hi_u32 v3, v2, s1
	v_lshrrev_b32_e32 v3, 3, v3
	v_mul_lo_u32 v14, v3, 26
	v_sub_u32_e32 v2, v2, v14
	s_movk_i32 s1, 0xb6
	v_mad_u64_u32 v[2:3], s[18:19], v3, s1, v[2:3]
	v_mov_b32_e32 v49, v15
	v_mad_u64_u32 v[14:15], s[18:19], s8, v2, 0
	global_store_dwordx2 v[68:69], v[18:19], off
	v_mov_b32_e32 v18, v15
	v_mad_u64_u32 v[18:19], s[18:19], s9, v2, v[18:19]
	v_add_u32_e32 v3, 26, v2
	v_mov_b32_e32 v15, v18
	v_mad_u64_u32 v[18:19], s[18:19], s8, v3, 0
	global_store_dwordx2 v[70:71], v[22:23], off
	v_mov_b32_e32 v22, v19
	v_mad_u64_u32 v[22:23], s[18:19], s9, v3, v[22:23]
	v_add_u32_e32 v3, 52, v2
	v_mov_b32_e32 v19, v22
	v_mad_u64_u32 v[22:23], s[18:19], s8, v3, 0
	v_mov_b32_e32 v26, v23
	v_mad_u64_u32 v[26:27], s[18:19], s9, v3, v[26:27]
	v_add_u32_e32 v3, 0x4e, v2
	v_mov_b32_e32 v23, v26
	v_mad_u64_u32 v[26:27], s[18:19], s8, v3, 0
	;; [unrolled: 5-line block ×4, first 2 shown]
	global_store_dwordx2 v[72:73], v[48:49], off
	v_mov_b32_e32 v48, v47
	v_add_u32_e32 v35, 0x9c, v2
	v_mad_u64_u32 v[48:49], s[18:19], s9, v3, v[48:49]
	v_mad_u64_u32 v[2:3], s[18:19], s8, v35, 0
	v_mov_b32_e32 v47, v48
	v_mov_b32_e32 v48, v3
	v_mad_u64_u32 v[48:49], s[8:9], s9, v35, v[48:49]
	v_mov_b32_e32 v67, v51
	v_mov_b32_e32 v3, v48
	;; [unrolled: 1-line block ×3, first 2 shown]
	s_waitcnt vmcnt(6)
	v_mov_b32_e32 v51, v59
	v_lshl_add_u64 v[82:83], v[82:83], 3, v[28:29]
	v_lshl_add_u64 v[14:15], v[14:15], 3, v[28:29]
	;; [unrolled: 1-line block ×8, first 2 shown]
	v_mov_b32_e32 v28, v8
	v_mov_b32_e32 v29, v58
	v_mov_b32_e32 v48, v24
	v_mov_b32_e32 v49, v63
	v_pk_mul_f32 v[40:41], v[40:41], v[50:51]
	v_mov_b32_e32 v37, v16
	v_pk_fma_f32 v[8:9], v[8:9], v[24:25], v[40:41]
	v_pk_fma_f32 v[24:25], v[28:29], v[48:49], v[40:41] neg_lo:[0,0,1] neg_hi:[0,0,1]
	v_mov_b32_e32 v48, v7
	v_mov_b32_e32 v49, v61
	v_mov_b32_e32 v28, v6
	v_mov_b32_e32 v29, v60
	v_mov_b32_e32 v40, v20
	v_mov_b32_e32 v41, v17
	v_pk_mul_f32 v[36:37], v[36:37], v[48:49]
	v_mov_b32_e32 v48, v63
	v_pk_fma_f32 v[6:7], v[6:7], v[20:21], v[36:37]
	v_pk_fma_f32 v[20:21], v[28:29], v[40:41], v[36:37] neg_lo:[0,0,1] neg_hi:[0,0,1]
	v_mov_b32_e32 v37, v10
	v_mov_b32_e32 v49, v32
	;; [unrolled: 10-line block ×3, first 2 shown]
	v_mov_b32_e32 v11, v4
	v_mov_b32_e32 v16, v17
	v_mov_b32_e32 v17, v12
	v_mov_b32_e32 v4, v61
	v_mov_b32_e32 v10, v60
	v_mov_b32_e32 v37, v13
	v_pk_mul_f32 v[4:5], v[16:17], v[4:5]
	v_mov_b32_e32 v7, v21
	v_pk_fma_f32 v[12:13], v[10:11], v[36:37], v[4:5]
	v_pk_fma_f32 v[4:5], v[10:11], v[36:37], v[4:5] neg_lo:[0,0,1] neg_hi:[0,0,1]
	v_pk_add_f32 v[28:29], v[6:7], v[8:9] neg_lo:[0,1] neg_hi:[0,1]
	v_mov_b32_e32 v13, v5
	v_pk_add_f32 v[4:5], v[12:13], v[32:33]
	v_pk_add_f32 v[6:7], v[6:7], v[8:9]
	v_mov_b32_e32 v8, v4
	v_mov_b32_e32 v35, v7
	;; [unrolled: 1-line block ×3, first 2 shown]
	v_pk_add_f32 v[8:9], v[34:35], v[8:9] neg_lo:[0,1] neg_hi:[0,1]
	v_mov_b32_e32 v36, v6
	v_mov_b32_e32 v37, v44
	;; [unrolled: 1-line block ×3, first 2 shown]
	v_pk_add_f32 v[10:11], v[4:5], v[6:7] neg_lo:[0,1] neg_hi:[0,1]
	v_pk_add_f32 v[40:41], v[34:35], v[36:37]
	v_mov_b32_e32 v5, v7
	v_pk_add_f32 v[4:5], v[4:5], v[40:41]
	v_pk_mul_f32 v[8:9], v[8:9], s[2:3]
	v_pk_add_f32 v[0:1], v[4:5], v[0:1]
	v_pk_mul_f32 v[16:17], v[10:11], s[4:5]
	v_pk_fma_f32 v[10:11], v[10:11], s[4:5], v[8:9]
	v_pk_fma_f32 v[4:5], v[4:5], s[12:13], v[0:1] op_sel_hi:[1,0,1] neg_lo:[1,0,0] neg_hi:[1,0,0]
	v_mov_b32_e32 v20, v21
	v_pk_add_f32 v[6:7], v[10:11], v[4:5]
	v_pk_add_f32 v[10:11], v[12:13], v[32:33] neg_lo:[0,1] neg_hi:[0,1]
	v_mov_b32_e32 v21, v42
	v_mov_b32_e32 v42, v25
	;; [unrolled: 1-line block ×6, first 2 shown]
	v_pk_add_f32 v[20:21], v[20:21], v[42:43] neg_lo:[0,1] neg_hi:[0,1]
	v_pk_add_f32 v[12:13], v[24:25], v[12:13] neg_lo:[0,1] neg_hi:[0,1]
	v_mov_b32_e32 v24, v11
	v_mov_b32_e32 v25, v13
	;; [unrolled: 1-line block ×4, first 2 shown]
	v_pk_add_f32 v[24:25], v[24:25], v[32:33] neg_lo:[0,1] neg_hi:[0,1]
	v_pk_add_f32 v[32:33], v[20:21], v[12:13] neg_lo:[0,1] neg_hi:[0,1]
	v_mov_b32_e32 v40, v20
	v_mov_b32_e32 v41, v13
	;; [unrolled: 1-line block ×3, first 2 shown]
	v_pk_mul_f32 v[24:25], v[24:25], s[14:15]
	v_pk_add_f32 v[28:29], v[40:41], v[12:13]
	v_mov_b32_e32 v20, v11
	v_pk_mul_f32 v[38:39], v[32:33], s[16:17]
	v_pk_fma_f32 v[32:33], v[32:33], s[16:17], v[24:25]
	v_pk_add_f32 v[10:11], v[20:21], v[28:29]
	global_store_dwordx2 v[82:83], v[66:67], off
	v_pk_fma_f32 v[28:29], v[10:11], s[0:1], v[32:33] op_sel_hi:[1,0,1]
	global_store_dwordx2 v[14:15], v[0:1], off
	v_pk_add_f32 v[32:33], v[6:7], v[28:29] neg_lo:[0,1] neg_hi:[0,1]
	v_pk_add_f32 v[6:7], v[6:7], v[28:29]
	v_mov_b32_e32 v1, v33
	v_mov_b32_e32 v0, v6
	global_store_dwordx2 v[18:19], v[0:1], off
	v_mov_b32_e32 v0, v8
	v_mov_b32_e32 v1, v17
	v_pk_add_f32 v[14:15], v[36:37], v[34:35] neg_lo:[0,1] neg_hi:[0,1]
	v_mov_b32_e32 v17, v9
	v_pk_fma_f32 v[0:1], v[14:15], s[6:7], v[0:1] op_sel_hi:[1,0,1] neg_lo:[1,0,1] neg_hi:[1,0,1]
	v_pk_add_f32 v[12:13], v[12:13], v[20:21] neg_lo:[0,1] neg_hi:[0,1]
	v_mov_b32_e32 v18, v24
	v_mov_b32_e32 v19, v39
	v_pk_fma_f32 v[8:9], v[14:15], s[6:7], v[16:17] op_sel_hi:[1,0,1] neg_lo:[0,0,1] neg_hi:[0,0,1]
	v_mov_b32_e32 v39, v25
	v_pk_add_f32 v[0:1], v[0:1], v[4:5]
	v_pk_fma_f32 v[18:19], v[12:13], s[10:11], v[18:19] op_sel_hi:[1,0,1] neg_lo:[1,0,1] neg_hi:[1,0,1]
	v_pk_add_f32 v[4:5], v[8:9], v[4:5]
	v_pk_fma_f32 v[8:9], v[12:13], s[10:11], v[38:39] op_sel_hi:[1,0,1] neg_lo:[0,0,1] neg_hi:[0,0,1]
	v_pk_fma_f32 v[18:19], v[10:11], s[0:1], v[18:19] op_sel_hi:[1,0,1]
	v_pk_fma_f32 v[8:9], v[10:11], s[0:1], v[8:9] op_sel_hi:[1,0,1]
	v_pk_add_f32 v[20:21], v[0:1], v[18:19] neg_lo:[0,1] neg_hi:[0,1]
	v_pk_add_f32 v[0:1], v[0:1], v[18:19]
	v_pk_add_f32 v[10:11], v[4:5], v[8:9]
	v_pk_add_f32 v[4:5], v[4:5], v[8:9] neg_lo:[0,1] neg_hi:[0,1]
	v_mov_b32_e32 v18, v0
	v_mov_b32_e32 v19, v21
	;; [unrolled: 1-line block ×7, first 2 shown]
	global_store_dwordx2 v[22:23], v[18:19], off
	global_store_dwordx2 v[26:27], v[8:9], off
	;; [unrolled: 1-line block ×5, first 2 shown]
.LBB0_17:
	s_endpgm
	.section	.rodata,"a",@progbits
	.p2align	6, 0x0
	.amdhsa_kernel fft_rtc_back_len182_factors_13_2_7_wgs_52_tpt_13_sp_ip_CI_sbrr_dirReg
		.amdhsa_group_segment_fixed_size 0
		.amdhsa_private_segment_fixed_size 0
		.amdhsa_kernarg_size 88
		.amdhsa_user_sgpr_count 2
		.amdhsa_user_sgpr_dispatch_ptr 0
		.amdhsa_user_sgpr_queue_ptr 0
		.amdhsa_user_sgpr_kernarg_segment_ptr 1
		.amdhsa_user_sgpr_dispatch_id 0
		.amdhsa_user_sgpr_kernarg_preload_length 0
		.amdhsa_user_sgpr_kernarg_preload_offset 0
		.amdhsa_user_sgpr_private_segment_size 0
		.amdhsa_uses_dynamic_stack 0
		.amdhsa_enable_private_segment 0
		.amdhsa_system_sgpr_workgroup_id_x 1
		.amdhsa_system_sgpr_workgroup_id_y 0
		.amdhsa_system_sgpr_workgroup_id_z 0
		.amdhsa_system_sgpr_workgroup_info 0
		.amdhsa_system_vgpr_workitem_id 0
		.amdhsa_next_free_vgpr 194
		.amdhsa_next_free_sgpr 58
		.amdhsa_accum_offset 196
		.amdhsa_reserve_vcc 1
		.amdhsa_float_round_mode_32 0
		.amdhsa_float_round_mode_16_64 0
		.amdhsa_float_denorm_mode_32 3
		.amdhsa_float_denorm_mode_16_64 3
		.amdhsa_dx10_clamp 1
		.amdhsa_ieee_mode 1
		.amdhsa_fp16_overflow 0
		.amdhsa_tg_split 0
		.amdhsa_exception_fp_ieee_invalid_op 0
		.amdhsa_exception_fp_denorm_src 0
		.amdhsa_exception_fp_ieee_div_zero 0
		.amdhsa_exception_fp_ieee_overflow 0
		.amdhsa_exception_fp_ieee_underflow 0
		.amdhsa_exception_fp_ieee_inexact 0
		.amdhsa_exception_int_div_zero 0
	.end_amdhsa_kernel
	.text
.Lfunc_end0:
	.size	fft_rtc_back_len182_factors_13_2_7_wgs_52_tpt_13_sp_ip_CI_sbrr_dirReg, .Lfunc_end0-fft_rtc_back_len182_factors_13_2_7_wgs_52_tpt_13_sp_ip_CI_sbrr_dirReg
                                        ; -- End function
	.section	.AMDGPU.csdata,"",@progbits
; Kernel info:
; codeLenInByte = 10672
; NumSgprs: 64
; NumVgprs: 194
; NumAgprs: 0
; TotalNumVgprs: 194
; ScratchSize: 0
; MemoryBound: 0
; FloatMode: 240
; IeeeMode: 1
; LDSByteSize: 0 bytes/workgroup (compile time only)
; SGPRBlocks: 7
; VGPRBlocks: 24
; NumSGPRsForWavesPerEU: 64
; NumVGPRsForWavesPerEU: 194
; AccumOffset: 196
; Occupancy: 2
; WaveLimiterHint : 1
; COMPUTE_PGM_RSRC2:SCRATCH_EN: 0
; COMPUTE_PGM_RSRC2:USER_SGPR: 2
; COMPUTE_PGM_RSRC2:TRAP_HANDLER: 0
; COMPUTE_PGM_RSRC2:TGID_X_EN: 1
; COMPUTE_PGM_RSRC2:TGID_Y_EN: 0
; COMPUTE_PGM_RSRC2:TGID_Z_EN: 0
; COMPUTE_PGM_RSRC2:TIDIG_COMP_CNT: 0
; COMPUTE_PGM_RSRC3_GFX90A:ACCUM_OFFSET: 48
; COMPUTE_PGM_RSRC3_GFX90A:TG_SPLIT: 0
	.text
	.p2alignl 6, 3212836864
	.fill 256, 4, 3212836864
	.type	__hip_cuid_897b6be18bdba2dc,@object ; @__hip_cuid_897b6be18bdba2dc
	.section	.bss,"aw",@nobits
	.globl	__hip_cuid_897b6be18bdba2dc
__hip_cuid_897b6be18bdba2dc:
	.byte	0                               ; 0x0
	.size	__hip_cuid_897b6be18bdba2dc, 1

	.ident	"AMD clang version 19.0.0git (https://github.com/RadeonOpenCompute/llvm-project roc-6.4.0 25133 c7fe45cf4b819c5991fe208aaa96edf142730f1d)"
	.section	".note.GNU-stack","",@progbits
	.addrsig
	.addrsig_sym __hip_cuid_897b6be18bdba2dc
	.amdgpu_metadata
---
amdhsa.kernels:
  - .agpr_count:     0
    .args:
      - .actual_access:  read_only
        .address_space:  global
        .offset:         0
        .size:           8
        .value_kind:     global_buffer
      - .offset:         8
        .size:           8
        .value_kind:     by_value
      - .actual_access:  read_only
        .address_space:  global
        .offset:         16
        .size:           8
        .value_kind:     global_buffer
      - .actual_access:  read_only
        .address_space:  global
        .offset:         24
        .size:           8
        .value_kind:     global_buffer
      - .offset:         32
        .size:           8
        .value_kind:     by_value
      - .actual_access:  read_only
        .address_space:  global
        .offset:         40
        .size:           8
        .value_kind:     global_buffer
      - .actual_access:  read_only
        .address_space:  global
        .offset:         48
        .size:           8
        .value_kind:     global_buffer
      - .offset:         56
        .size:           4
        .value_kind:     by_value
      - .actual_access:  read_only
        .address_space:  global
        .offset:         64
        .size:           8
        .value_kind:     global_buffer
      - .actual_access:  read_only
        .address_space:  global
        .offset:         72
        .size:           8
        .value_kind:     global_buffer
      - .address_space:  global
        .offset:         80
        .size:           8
        .value_kind:     global_buffer
    .group_segment_fixed_size: 0
    .kernarg_segment_align: 8
    .kernarg_segment_size: 88
    .language:       OpenCL C
    .language_version:
      - 2
      - 0
    .max_flat_workgroup_size: 52
    .name:           fft_rtc_back_len182_factors_13_2_7_wgs_52_tpt_13_sp_ip_CI_sbrr_dirReg
    .private_segment_fixed_size: 0
    .sgpr_count:     64
    .sgpr_spill_count: 0
    .symbol:         fft_rtc_back_len182_factors_13_2_7_wgs_52_tpt_13_sp_ip_CI_sbrr_dirReg.kd
    .uniform_work_group_size: 1
    .uses_dynamic_stack: false
    .vgpr_count:     194
    .vgpr_spill_count: 0
    .wavefront_size: 64
amdhsa.target:   amdgcn-amd-amdhsa--gfx950
amdhsa.version:
  - 1
  - 2
...

	.end_amdgpu_metadata
